;; amdgpu-corpus repo=ROCm/rocFFT kind=compiled arch=gfx1030 opt=O3
	.text
	.amdgcn_target "amdgcn-amd-amdhsa--gfx1030"
	.amdhsa_code_object_version 6
	.protected	fft_rtc_back_len1331_factors_11_11_11_wgs_121_tpt_121_half_op_CI_CI_sbrc_unaligned_dirReg ; -- Begin function fft_rtc_back_len1331_factors_11_11_11_wgs_121_tpt_121_half_op_CI_CI_sbrc_unaligned_dirReg
	.globl	fft_rtc_back_len1331_factors_11_11_11_wgs_121_tpt_121_half_op_CI_CI_sbrc_unaligned_dirReg
	.p2align	8
	.type	fft_rtc_back_len1331_factors_11_11_11_wgs_121_tpt_121_half_op_CI_CI_sbrc_unaligned_dirReg,@function
fft_rtc_back_len1331_factors_11_11_11_wgs_121_tpt_121_half_op_CI_CI_sbrc_unaligned_dirReg: ; @fft_rtc_back_len1331_factors_11_11_11_wgs_121_tpt_121_half_op_CI_CI_sbrc_unaligned_dirReg
; %bb.0:
	s_clause 0x2
	s_load_dwordx8 s[8:15], s[4:5], 0x0
	s_load_dwordx2 s[24:25], s[4:5], 0x20
	s_load_dwordx4 s[16:19], s[4:5], 0x58
	s_mov_b32 s26, 0
	s_mov_b64 s[28:29], 2
	s_waitcnt lgkmcnt(0)
	s_load_dword s33, s[12:13], 0x8
	s_load_dwordx4 s[20:23], s[14:15], 0x0
	v_cmp_gt_u64_e64 s27, s[10:11], 2
	s_waitcnt lgkmcnt(0)
	v_cvt_f32_u32_e32 v1, s33
	s_sub_i32 s1, 0, s33
	v_rcp_iflag_f32_e32 v1, v1
	v_mul_f32_e32 v1, 0x4f7ffffe, v1
	v_cvt_u32_f32_e32 v1, v1
	v_readfirstlane_b32 s0, v1
	s_mul_i32 s1, s1, s0
	s_mul_hi_u32 s1, s0, s1
	s_add_i32 s0, s0, s1
	s_mul_hi_u32 s7, s6, s0
	s_load_dwordx4 s[0:3], s[24:25], 0x0
	s_waitcnt lgkmcnt(0)
	s_mul_i32 s3, s7, s33
	s_add_i32 s4, s7, 1
	s_sub_i32 s3, s6, s3
	s_sub_i32 s5, s3, s33
	s_cmp_ge_u32 s3, s33
	s_cselect_b32 s4, s4, s7
	s_cselect_b32 s3, s5, s3
	s_add_i32 s5, s4, 1
	s_cmp_ge_u32 s3, s33
	s_mov_b32 s7, s26
	s_cselect_b32 s3, s5, s4
	s_and_b32 vcc_lo, exec_lo, s27
	s_mul_i32 s4, s3, s33
	s_sub_i32 s23, s6, s4
	s_mul_i32 s36, s23, s22
	s_mul_i32 s1, s1, s23
	s_mul_hi_u32 s5, s0, s23
	s_mul_i32 s4, s0, s23
	s_add_i32 s5, s5, s1
	s_cbranch_vccz .LBB0_9
; %bb.1:
	s_mov_b32 s0, 3
	s_mov_b32 s37, s33
.LBB0_2:                                ; =>This Inner Loop Header: Depth=1
	s_lshl_b64 s[30:31], s[28:29], 3
	s_mov_b32 s1, -1
	s_add_u32 s28, s12, s30
	s_addc_u32 s29, s13, s31
                                        ; implicit-def: $sgpr34_sgpr35
	s_load_dwordx2 s[28:29], s[28:29], 0x0
	s_waitcnt lgkmcnt(0)
	s_mov_b32 s27, s29
	s_cmp_lg_u64 s[26:27], 0
	s_cbranch_scc0 .LBB0_4
; %bb.3:                                ;   in Loop: Header=BB0_2 Depth=1
	v_cvt_f32_u32_e32 v1, s28
	v_cvt_f32_u32_e32 v2, s29
	s_sub_u32 s34, 0, s28
	s_subb_u32 s35, 0, s29
	v_fmac_f32_e32 v1, 0x4f800000, v2
	v_rcp_f32_e32 v1, v1
	v_mul_f32_e32 v1, 0x5f7ffffc, v1
	v_mul_f32_e32 v2, 0x2f800000, v1
	v_trunc_f32_e32 v2, v2
	v_fmac_f32_e32 v1, 0xcf800000, v2
	v_cvt_u32_f32_e32 v2, v2
	v_cvt_u32_f32_e32 v1, v1
	v_readfirstlane_b32 s1, v2
	v_readfirstlane_b32 s27, v1
	s_mul_i32 s38, s34, s1
	s_mul_hi_u32 s40, s34, s27
	s_mul_i32 s39, s35, s27
	s_add_i32 s38, s40, s38
	s_mul_i32 s41, s34, s27
	s_add_i32 s38, s38, s39
	s_mul_hi_u32 s40, s27, s41
	s_mul_hi_u32 s42, s1, s41
	s_mul_i32 s39, s1, s41
	s_mul_hi_u32 s41, s27, s38
	s_mul_i32 s27, s27, s38
	s_mul_hi_u32 s43, s1, s38
	s_add_u32 s27, s40, s27
	s_addc_u32 s40, 0, s41
	s_add_u32 s27, s27, s39
	s_mul_i32 s38, s1, s38
	s_addc_u32 s27, s40, s42
	s_addc_u32 s39, s43, 0
	s_add_u32 s27, s27, s38
	s_addc_u32 s38, 0, s39
	v_add_co_u32 v1, s27, v1, s27
	s_cmp_lg_u32 s27, 0
	s_addc_u32 s1, s1, s38
	v_readfirstlane_b32 s27, v1
	s_mul_i32 s38, s34, s1
	s_mul_hi_u32 s39, s34, s27
	s_mul_i32 s35, s35, s27
	s_add_i32 s38, s39, s38
	s_mul_i32 s34, s34, s27
	s_add_i32 s38, s38, s35
	s_mul_hi_u32 s39, s1, s34
	s_mul_i32 s40, s1, s34
	s_mul_hi_u32 s34, s27, s34
	s_mul_hi_u32 s41, s27, s38
	s_mul_i32 s27, s27, s38
	s_mul_hi_u32 s35, s1, s38
	s_add_u32 s27, s34, s27
	s_addc_u32 s34, 0, s41
	s_add_u32 s27, s27, s40
	s_mul_i32 s38, s1, s38
	s_addc_u32 s27, s34, s39
	s_addc_u32 s34, s35, 0
	s_add_u32 s27, s27, s38
	s_addc_u32 s34, 0, s34
	v_add_co_u32 v1, s27, v1, s27
	s_cmp_lg_u32 s27, 0
	s_addc_u32 s1, s1, s34
	v_readfirstlane_b32 s27, v1
	s_mul_i32 s34, s3, s1
	s_mul_hi_u32 s1, s3, s1
	s_mul_hi_u32 s27, s3, s27
	s_add_u32 s27, s27, s34
	s_addc_u32 s27, 0, s1
	s_mul_i32 s1, s29, s27
	s_mul_hi_u32 s34, s28, s27
	s_mul_i32 s35, s28, s27
	s_add_i32 s34, s34, s1
	v_sub_co_u32 v1, s1, s3, s35
	s_sub_i32 s35, 0, s34
	s_cmp_lg_u32 s1, 0
	v_sub_co_u32 v2, s38, v1, s28
	s_subb_u32 s35, s35, s29
	s_cmp_lg_u32 s38, 0
	v_readfirstlane_b32 s38, v2
	s_subb_u32 s35, s35, 0
	s_cmp_ge_u32 s35, s29
	s_cselect_b32 s39, -1, 0
	s_cmp_ge_u32 s38, s28
	s_cselect_b32 s38, -1, 0
	s_cmp_eq_u32 s35, s29
	s_cselect_b32 s35, s38, s39
	s_add_u32 s38, s27, 1
	s_addc_u32 s39, 0, 0
	s_add_u32 s40, s27, 2
	s_addc_u32 s41, 0, 0
	s_cmp_lg_u32 s35, 0
	s_cselect_b32 s38, s40, s38
	s_cselect_b32 s35, s41, s39
	s_cmp_lg_u32 s1, 0
	v_readfirstlane_b32 s1, v1
	s_subb_u32 s34, 0, s34
	s_cmp_ge_u32 s34, s29
	s_cselect_b32 s39, -1, 0
	s_cmp_ge_u32 s1, s28
	s_cselect_b32 s1, -1, 0
	s_cmp_eq_u32 s34, s29
	s_cselect_b32 s1, s1, s39
	s_cmp_lg_u32 s1, 0
	s_mov_b32 s1, 0
	s_cselect_b32 s35, s35, 0
	s_cselect_b32 s34, s38, s27
.LBB0_4:                                ;   in Loop: Header=BB0_2 Depth=1
	s_andn2_b32 vcc_lo, exec_lo, s1
	s_cbranch_vccnz .LBB0_6
; %bb.5:                                ;   in Loop: Header=BB0_2 Depth=1
	v_cvt_f32_u32_e32 v1, s28
	s_sub_i32 s27, 0, s28
	v_rcp_iflag_f32_e32 v1, v1
	v_mul_f32_e32 v1, 0x4f7ffffe, v1
	v_cvt_u32_f32_e32 v1, v1
	v_readfirstlane_b32 s1, v1
	s_mul_i32 s27, s27, s1
	s_mul_hi_u32 s27, s1, s27
	s_add_i32 s1, s1, s27
	s_mul_hi_u32 s1, s3, s1
	s_mul_i32 s27, s1, s28
	s_add_i32 s34, s1, 1
	s_sub_i32 s27, s3, s27
	s_sub_i32 s35, s27, s28
	s_cmp_ge_u32 s27, s28
	s_cselect_b32 s1, s34, s1
	s_cselect_b32 s27, s35, s27
	s_add_i32 s34, s1, 1
	s_cmp_ge_u32 s27, s28
	s_mov_b32 s35, s26
	s_cselect_b32 s34, s34, s1
.LBB0_6:                                ;   in Loop: Header=BB0_2 Depth=1
	s_mul_i32 s1, s34, s29
	s_mul_hi_u32 s27, s34, s28
	s_mul_i32 s29, s34, s28
	s_add_i32 s1, s27, s1
	s_mul_i32 s27, s35, s28
	s_mul_i32 s37, s37, s28
	s_add_i32 s1, s1, s27
	s_sub_u32 s3, s3, s29
	s_subb_u32 s27, 0, s1
	s_add_u32 s38, s14, s30
	s_addc_u32 s39, s15, s31
	s_load_dwordx2 s[38:39], s[38:39], 0x0
	s_waitcnt lgkmcnt(0)
	s_mul_i32 s1, s38, s27
	s_mul_hi_u32 s29, s38, s3
	s_mul_i32 s35, s39, s3
	s_add_i32 s1, s29, s1
	s_mul_i32 s29, s38, s3
	s_add_i32 s1, s1, s35
	s_add_u32 s36, s29, s36
	s_addc_u32 s7, s1, s7
	s_add_u32 s30, s24, s30
	s_addc_u32 s31, s25, s31
	s_mov_b32 s1, s26
	s_load_dwordx2 s[30:31], s[30:31], 0x0
	s_mov_b64 s[28:29], s[0:1]
	v_cmp_ge_u64_e64 s1, s[0:1], s[10:11]
	s_waitcnt lgkmcnt(0)
	s_mul_i32 s27, s30, s27
	s_mul_hi_u32 s35, s30, s3
	s_mul_i32 s31, s31, s3
	s_add_i32 s27, s35, s27
	s_mul_i32 s3, s30, s3
	s_add_i32 s27, s27, s31
	s_add_u32 s4, s3, s4
	s_addc_u32 s5, s27, s5
	s_and_b32 vcc_lo, exec_lo, s1
	s_add_i32 s0, s0, 1
	s_cbranch_vccnz .LBB0_8
; %bb.7:                                ;   in Loop: Header=BB0_2 Depth=1
	s_mov_b32 s3, s34
	s_branch .LBB0_2
.LBB0_8:
	v_cvt_f32_u32_e32 v1, s37
	s_sub_i32 s1, 0, s37
	v_rcp_iflag_f32_e32 v1, v1
	v_mul_f32_e32 v1, 0x4f7ffffe, v1
	v_cvt_u32_f32_e32 v1, v1
	v_readfirstlane_b32 s0, v1
	s_mul_i32 s1, s1, s0
	s_mul_hi_u32 s1, s0, s1
	s_add_i32 s0, s0, s1
	s_mul_hi_u32 s0, s6, s0
	s_mul_i32 s1, s0, s37
	s_add_i32 s3, s0, 1
	s_sub_i32 s1, s6, s1
	s_sub_i32 s6, s1, s37
	s_cmp_ge_u32 s1, s37
	s_cselect_b32 s0, s3, s0
	s_cselect_b32 s1, s6, s1
	s_add_i32 s3, s0, 1
	s_cmp_ge_u32 s1, s37
	s_cselect_b32 s3, s3, s0
.LBB0_9:
	s_lshl_b64 s[0:1], s[10:11], 3
	v_lshl_add_u32 v3, v0, 2, 0
	s_add_u32 s10, s14, s0
	s_addc_u32 s11, s15, s1
	s_load_dwordx2 s[10:11], s[10:11], 0x0
	s_waitcnt lgkmcnt(0)
	s_mul_i32 s6, s11, s3
	s_mul_hi_u32 s11, s10, s3
	s_mul_i32 s10, s10, s3
	s_add_i32 s11, s11, s6
	s_add_u32 s10, s10, s36
	s_addc_u32 s11, s11, s7
	s_add_u32 s0, s24, s0
	s_addc_u32 s1, s25, s1
	s_add_i32 s23, s23, 1
	s_load_dwordx2 s[6:7], s[0:1], 0x0
	s_cmp_le_u32 s23, s33
	s_mov_b32 s0, -1
	s_cbranch_scc0 .LBB0_11
; %bb.10:
	v_mad_u64_u32 v[1:2], null, s20, v0, 0
	v_add_nc_u32_e32 v9, 0x79, v0
	v_mov_b32_e32 v8, 0x16b
	v_add_nc_u32_e32 v11, 0xf2, v0
	v_cmp_gt_u32_e32 vcc_lo, 0x3c8, v0
	s_lshl_b64 s[12:13], s[10:11], 2
	v_mad_u64_u32 v[4:5], null, s20, v9, 0
	v_mad_u64_u32 v[6:7], null, s21, v0, v[2:3]
	v_cndmask_b32_e32 v31, 0xfffffc38, v8, vcc_lo
	v_mad_u64_u32 v[7:8], null, s20, v11, 0
	s_add_u32 s1, s16, s12
	s_addc_u32 s12, s17, s13
	v_add_nc_u32_e32 v13, v31, v0
	v_mov_b32_e32 v2, v6
	v_mad_u64_u32 v[5:6], null, s21, v9, v[5:6]
	v_mov_b32_e32 v6, v8
	v_mad_u64_u32 v[9:10], null, s20, v13, 0
	v_lshlrev_b64 v[1:2], 2, v[1:2]
	v_mov_b32_e32 v14, 0
	v_mad_u64_u32 v[11:12], null, s21, v11, v[6:7]
	v_mov_b32_e32 v12, 0x1e4
	v_lshlrev_b64 v[4:5], 2, v[4:5]
	v_add_co_u32 v1, vcc_lo, s1, v1
	v_add_co_ci_u32_e32 v2, vcc_lo, s12, v2, vcc_lo
	v_cmp_gt_u32_e32 vcc_lo, 0x34f, v0
	v_mov_b32_e32 v8, v11
	v_mov_b32_e32 v6, v10
	v_cndmask_b32_e32 v32, 0xfffffcb1, v12, vcc_lo
	v_lshlrev_b64 v[7:8], 2, v[7:8]
	v_add_co_u32 v4, vcc_lo, s1, v4
	v_add_co_ci_u32_e32 v5, vcc_lo, s12, v5, vcc_lo
	v_add_nc_u32_e32 v15, v32, v0
	v_mad_u64_u32 v[10:11], null, s21, v13, v[6:7]
	v_cmp_lt_u32_e32 vcc_lo, 0x3c7, v0
	v_add_co_u32 v6, s0, s1, v7
	v_mad_u64_u32 v[11:12], null, s20, v15, 0
	v_add_co_ci_u32_e64 v7, s0, s12, v8, s0
	v_lshlrev_b64 v[9:10], 2, v[9:10]
	v_cndmask_b32_e64 v33, 0, 1, vcc_lo
	v_cndmask_b32_e64 v13, 0, s22, vcc_lo
	v_cmp_gt_u32_e32 vcc_lo, 0x2d6, v0
	v_mov_b32_e32 v8, v12
	v_mov_b32_e32 v12, 0x25d
	v_mad_u64_u32 v[15:16], null, s21, v15, v[8:9]
	v_cndmask_b32_e32 v34, 0xfffffd2a, v12, vcc_lo
	v_add_co_u32 v17, vcc_lo, s1, v9
	v_add_co_ci_u32_e32 v10, vcc_lo, s12, v10, vcc_lo
	v_lshlrev_b64 v[8:9], 2, v[13:14]
	v_add_nc_u32_e32 v18, v34, v0
	v_cmp_lt_u32_e32 vcc_lo, 0x34e, v0
	v_mov_b32_e32 v12, v15
	v_mad_u64_u32 v[15:16], null, s20, v18, 0
	v_add_co_u32 v8, s0, v17, v8
	v_cndmask_b32_e64 v35, 0, 1, vcc_lo
	v_mov_b32_e32 v17, 0x2d6
	v_cndmask_b32_e64 v13, 0, s22, vcc_lo
	v_cmp_gt_u32_e32 vcc_lo, 0x25d, v0
	v_add_co_ci_u32_e64 v9, s0, v10, v9, s0
	v_lshlrev_b64 v[10:11], 2, v[11:12]
	v_mov_b32_e32 v12, v16
	v_cndmask_b32_e32 v36, 0xfffffda3, v17, vcc_lo
	v_add_co_u32 v16, vcc_lo, s1, v10
	v_add_nc_u32_e32 v20, v36, v0
	v_add_co_ci_u32_e32 v19, vcc_lo, s12, v11, vcc_lo
	v_lshlrev_b64 v[10:11], 2, v[13:14]
	v_mad_u64_u32 v[12:13], null, s21, v18, v[12:13]
	v_cmp_lt_u32_e32 vcc_lo, 0x2d5, v0
	v_mad_u64_u32 v[17:18], null, s20, v20, 0
	v_add_co_u32 v10, s0, v16, v10
	v_add_co_ci_u32_e64 v11, s0, v19, v11, s0
	v_mov_b32_e32 v19, 0x34f
	v_cndmask_b32_e64 v37, 0, 1, vcc_lo
	v_cndmask_b32_e64 v13, 0, s22, vcc_lo
	v_cmp_gt_u32_e32 vcc_lo, 0x1e4, v0
	v_mov_b32_e32 v16, v12
	v_mov_b32_e32 v12, v18
	v_cmp_gt_u32_e64 s0, 0x16b, v0
	v_cndmask_b32_e32 v38, 0xfffffe1c, v19, vcc_lo
	v_lshlrev_b64 v[15:16], 2, v[15:16]
	v_lshlrev_b64 v[18:19], 2, v[13:14]
	v_mad_u64_u32 v[12:13], null, s21, v20, v[12:13]
	v_add_nc_u32_e32 v13, v38, v0
	v_add_co_u32 v20, vcc_lo, s1, v15
	v_add_co_ci_u32_e32 v21, vcc_lo, s12, v16, vcc_lo
	v_mad_u64_u32 v[15:16], null, s20, v13, 0
	v_add_co_u32 v20, vcc_lo, v20, v18
	v_mov_b32_e32 v18, v12
	v_add_co_ci_u32_e32 v21, vcc_lo, v21, v19, vcc_lo
	v_cmp_lt_u32_e32 vcc_lo, 0x25c, v0
	v_mov_b32_e32 v12, v16
	v_lshlrev_b64 v[16:17], 2, v[17:18]
	v_mov_b32_e32 v19, 0x3c8
	v_cndmask_b32_e64 v39, 0, 1, vcc_lo
	v_mad_u64_u32 v[12:13], null, s21, v13, v[12:13]
	v_cndmask_b32_e64 v13, 0, s22, vcc_lo
	v_cndmask_b32_e64 v19, 0xfffffe95, v19, s0
	v_add_co_u32 v25, vcc_lo, s1, v16
	v_add_co_ci_u32_e32 v26, vcc_lo, s12, v17, vcc_lo
	v_lshlrev_b64 v[17:18], 2, v[13:14]
	v_cmp_lt_u32_e32 vcc_lo, 0x1e3, v0
	v_add_nc_u32_e32 v24, v19, v0
	v_mov_b32_e32 v16, v12
	v_lshlrev_b32_e32 v19, 2, v19
	v_add_co_u32 v17, s0, v25, v17
	v_cndmask_b32_e64 v40, 0, 1, vcc_lo
	v_cndmask_b32_e64 v13, 0, s22, vcc_lo
	v_mov_b32_e32 v25, 0x441
	v_cmp_gt_u32_e32 vcc_lo, 0xf2, v0
	v_mad_u64_u32 v[22:23], null, s20, v24, 0
	v_add_co_ci_u32_e64 v18, s0, v26, v18, s0
	v_cndmask_b32_e32 v41, 0xffffff0e, v25, vcc_lo
	v_lshlrev_b64 v[15:16], 2, v[15:16]
	v_mov_b32_e32 v26, 0x4ba
	v_cmp_gt_u32_e32 vcc_lo, 0x79, v0
	v_mov_b32_e32 v12, v23
	v_add_nc_u32_e32 v28, v41, v0
	v_cndmask_b32_e32 v42, 0xffffff87, v26, vcc_lo
	v_add_co_u32 v26, vcc_lo, s1, v15
	v_mad_u64_u32 v[23:24], null, s21, v24, v[12:13]
	v_add_co_ci_u32_e32 v27, vcc_lo, s12, v16, vcc_lo
	v_lshlrev_b64 v[12:13], 2, v[13:14]
	v_mad_u64_u32 v[15:16], null, s20, v28, 0
	v_add_nc_u32_e32 v30, v42, v0
	v_cmp_lt_u32_e32 vcc_lo, 0x16a, v0
	v_lshlrev_b64 v[22:23], 2, v[22:23]
	v_add_co_u32 v26, s0, v26, v12
	v_mad_u64_u32 v[24:25], null, s20, v30, 0
	v_add_co_ci_u32_e64 v27, s0, v27, v13, s0
	v_mov_b32_e32 v12, v16
	v_cndmask_b32_e64 v13, 0, s22, vcc_lo
	v_cndmask_b32_e64 v43, 0, 1, vcc_lo
	v_add_co_u32 v22, vcc_lo, s1, v22
	v_mov_b32_e32 v16, v25
	v_mad_u64_u32 v[28:29], null, s21, v28, v[12:13]
	v_lshlrev_b64 v[12:13], 2, v[13:14]
	v_add_co_ci_u32_e32 v23, vcc_lo, s12, v23, vcc_lo
	v_mad_u64_u32 v[29:30], null, s21, v30, v[16:17]
	v_cmp_lt_u32_e32 vcc_lo, 0xf1, v0
	v_mov_b32_e32 v16, v28
	v_add_co_u32 v22, s0, v22, v12
	v_add_co_ci_u32_e64 v23, s0, v23, v13, s0
	v_lshlrev_b64 v[15:16], 2, v[15:16]
	v_mov_b32_e32 v25, v29
	v_cndmask_b32_e64 v28, 0, 1, vcc_lo
	v_cndmask_b32_e64 v13, 0, s22, vcc_lo
	v_cmp_lt_u32_e32 vcc_lo, 0x78, v0
	v_add_co_u32 v29, s0, s1, v15
	v_lshlrev_b64 v[24:25], 2, v[24:25]
	v_add_co_ci_u32_e64 v30, s0, s12, v16, s0
	v_lshlrev_b64 v[15:16], 2, v[13:14]
	v_cndmask_b32_e64 v13, 0, s22, vcc_lo
	v_cndmask_b32_e64 v44, 0, 1, vcc_lo
	v_add_co_u32 v24, vcc_lo, s1, v24
	v_add_co_ci_u32_e32 v25, vcc_lo, s12, v25, vcc_lo
	v_lshlrev_b64 v[12:13], 2, v[13:14]
	v_add_co_u32 v14, vcc_lo, v29, v15
	v_add_co_ci_u32_e32 v15, vcc_lo, v30, v16, vcc_lo
	v_lshlrev_b32_e32 v16, 2, v37
	v_add_co_u32 v12, vcc_lo, v24, v12
	v_add_co_ci_u32_e32 v13, vcc_lo, v25, v13, vcc_lo
	s_clause 0xa
	global_load_dword v1, v[1:2], off
	global_load_dword v2, v[4:5], off
	;; [unrolled: 1-line block ×11, first 2 shown]
	v_lshl_add_u32 v13, v0, 2, 0
	v_lshlrev_b32_e32 v14, 2, v33
	v_lshlrev_b32_e32 v23, 2, v31
	;; [unrolled: 1-line block ×14, first 2 shown]
	v_add3_u32 v14, v13, v23, v14
	v_add3_u32 v15, v13, v24, v15
	;; [unrolled: 1-line block ×3, first 2 shown]
	s_mov_b32 s0, 0
	v_add3_u32 v17, v13, v26, v17
	v_add3_u32 v18, v13, v27, v18
	;; [unrolled: 1-line block ×5, first 2 shown]
	s_waitcnt vmcnt(9)
	ds_write2_b32 v13, v1, v2 offset1:121
	s_waitcnt vmcnt(8)
	ds_write_b32 v13, v4 offset:968
	s_waitcnt vmcnt(7)
	ds_write_b32 v14, v5
	s_waitcnt vmcnt(6)
	ds_write_b32 v15, v6
	;; [unrolled: 2-line block ×8, first 2 shown]
.LBB0_11:
	s_andn2_b32 vcc_lo, exec_lo, s0
	s_cbranch_vccnz .LBB0_15
; %bb.12:
	v_mad_u64_u32 v[1:2], null, s20, v0, 0
	s_lshl_b64 s[0:1], s[10:11], 2
	s_mul_i32 s10, s21, 0x1e4
	s_add_u32 s0, s16, s0
	s_addc_u32 s1, s17, s1
	s_mul_hi_u32 s11, s20, 0x1e4
	s_add_i32 s10, s11, s10
	v_mad_u64_u32 v[4:5], null, s21, v0, v[2:3]
	v_mov_b32_e32 v5, v3
	s_mul_i32 s11, s20, 0x1e4
	v_mov_b32_e32 v2, v4
	v_mov_b32_e32 v4, v0
	v_lshlrev_b64 v[1:2], 2, v[1:2]
	v_add_co_u32 v1, vcc_lo, s0, v1
	v_add_co_ci_u32_e32 v2, vcc_lo, s1, v2, vcc_lo
	s_mov_b32 s1, 0
	.p2align	6
.LBB0_13:                               ; =>This Inner Loop Header: Depth=1
	global_load_dword v6, v[1:2], off
	v_add_nc_u32_e32 v4, 0x79, v4
	v_add_co_u32 v1, vcc_lo, v1, s11
	v_add_co_ci_u32_e32 v2, vcc_lo, s10, v2, vcc_lo
	v_cmp_lt_u32_e64 s0, 0x532, v4
	s_or_b32 s1, s0, s1
	s_waitcnt vmcnt(0)
	ds_write_b32 v5, v6
	v_add_nc_u32_e32 v5, 0x1e4, v5
	s_andn2_b32 exec_lo, exec_lo, s1
	s_cbranch_execnz .LBB0_13
; %bb.14:
	s_or_b32 exec_lo, exec_lo, s1
.LBB0_15:
	s_waitcnt lgkmcnt(0)
	s_barrier
	buffer_gl0_inv
	ds_read2_b32 v[6:7], v3 offset1:121
	v_add_nc_u32_e32 v1, 0x200, v3
	ds_read_b32 v17, v3 offset:4840
	ds_read2_b32 v[9:10], v1 offset0:114 offset1:235
	v_add_nc_u32_e32 v2, 0x600, v3
	v_add_nc_u32_e32 v4, 0xa00, v3
	;; [unrolled: 1-line block ×3, first 2 shown]
	v_mov_b32_e32 v19, 0x3abb
	v_mov_b32_e32 v20, 0xbb47
	ds_read2_b32 v[11:12], v2 offset0:100 offset1:221
	ds_read2_b32 v[13:14], v4 offset0:86 offset1:207
	;; [unrolled: 1-line block ×3, first 2 shown]
	v_mov_b32_e32 v22, 0xbbeb
	v_mov_b32_e32 v21, 0x36a6
	v_mov_b32_e32 v25, 0xba0c
	v_mov_b32_e32 v18, 0xb853
	v_mov_b32_e32 v24, 0xb08e
	v_mov_b32_e32 v46, 0x3482
	s_waitcnt lgkmcnt(5)
	v_alignbit_b32 v23, s0, v7, 16
	v_pk_add_f16 v26, v7, v6 op_sel_hi:[1,0]
	v_mad_u32_u24 v8, v0, 40, v3
	s_waitcnt lgkmcnt(0)
	v_pk_add_f16 v29, v17, v7
	v_pk_add_f16 v23, v23, v6 op_sel:[0,1] op_sel_hi:[1,0]
	v_alignbit_b32 v28, s0, v9, 16
	v_pk_add_f16 v26, v26, v9
	v_alignbit_b32 v30, s0, v10, 16
	v_pk_add_f16 v7, v7, v17 neg_lo:[0,1] neg_hi:[0,1]
	v_mul_f16_sdwa v35, v29, v19 dst_sel:DWORD dst_unused:UNUSED_PAD src0_sel:WORD_1 src1_sel:DWORD
	v_pk_add_f16 v23, v23, v28
	v_alignbit_b32 v28, s0, v11, 16
	v_pk_add_f16 v26, v26, v10
	v_alignbit_b32 v31, s0, v12, 16
	v_alignbit_b32 v32, s0, v13, 16
	v_pk_add_f16 v23, v23, v30
	v_alignbit_b32 v30, s0, v14, 16
	v_pk_add_f16 v26, v26, v11
	v_alignbit_b32 v33, s0, v15, 16
	v_alignbit_b32 v34, s0, v16, 16
	v_pk_add_f16 v23, v23, v28
	v_mul_f16_sdwa v36, v7, v20 dst_sel:DWORD dst_unused:UNUSED_PAD src0_sel:WORD_1 src1_sel:DWORD
	v_pk_add_f16 v26, v26, v12
	v_mul_f16_sdwa v37, v7, v22 dst_sel:DWORD dst_unused:UNUSED_PAD src0_sel:WORD_1 src1_sel:DWORD
	v_alignbit_b32 v27, s0, v17, 16
	v_pk_add_f16 v23, v23, v31
	v_mul_f16_sdwa v31, v29, v21 dst_sel:DWORD dst_unused:UNUSED_PAD src0_sel:WORD_1 src1_sel:DWORD
	v_pk_add_f16 v26, v26, v13
	v_fmamk_f16 v39, v7, 0x3853, v35
	v_fmac_f16_e32 v35, 0xb853, v7
	v_pk_add_f16 v23, v23, v32
	v_fmamk_f16 v40, v7, 0x3b47, v31
	v_pk_add_f16 v26, v26, v14
	v_fmac_f16_e32 v31, 0xbb47, v7
	v_mul_f16_sdwa v28, v7, v18 dst_sel:DWORD dst_unused:UNUSED_PAD src0_sel:WORD_1 src1_sel:DWORD
	v_pk_add_f16 v23, v23, v30
	v_fmamk_f16 v30, v29, 0x36a6, v36
	v_pk_add_f16 v26, v26, v15
	v_pk_add_f16 v43, v9, v16 neg_lo:[0,1] neg_hi:[0,1]
	v_pk_add_f16 v9, v16, v9
	v_pk_add_f16 v23, v23, v33
	v_fma_f16 v33, v29, 0x36a6, -v36
	v_fmamk_f16 v36, v29, 0xb08e, v37
	v_pk_add_f16 v26, v26, v16
	v_mul_f16_sdwa v38, v29, v24 dst_sel:DWORD dst_unused:UNUSED_PAD src0_sel:WORD_1 src1_sel:DWORD
	v_pk_add_f16 v23, v23, v34
	v_fmamk_f16 v32, v29, 0x3abb, v28
	v_fma_f16 v28, v29, 0x3abb, -v28
	v_pk_add_f16 v17, v26, v17
	v_add_f16_sdwa v26, v35, v6 dst_sel:DWORD dst_unused:UNUSED_PAD src0_sel:DWORD src1_sel:WORD_1
	v_pk_add_f16 v23, v23, v27
	v_add_f16_e32 v35, v36, v6
	v_mul_f16_sdwa v36, v7, v25 dst_sel:DWORD dst_unused:UNUSED_PAD src0_sel:WORD_1 src1_sel:DWORD
	v_add_f16_e32 v27, v30, v6
	v_add_f16_sdwa v30, v40, v6 dst_sel:DWORD dst_unused:UNUSED_PAD src0_sel:DWORD src1_sel:WORD_1
	v_perm_b32 v17, v17, v23, 0x1000504
	v_add_f16_sdwa v23, v31, v6 dst_sel:DWORD dst_unused:UNUSED_PAD src0_sel:DWORD src1_sel:WORD_1
	v_mov_b32_e32 v31, 0xb93d
	v_fmamk_f16 v41, v29, 0xb93d, v36
	v_fma_f16 v36, v29, 0xb93d, -v36
	v_fma_f16 v37, v29, 0xb08e, -v37
	v_pk_mul_f16 v16, 0xbbad, v29 op_sel_hi:[0,1]
	v_mul_f16_sdwa v40, v29, v31 dst_sel:DWORD dst_unused:UNUSED_PAD src0_sel:WORD_1 src1_sel:DWORD
	v_mul_f16_sdwa v20, v43, v20 dst_sel:DWORD dst_unused:UNUSED_PAD src0_sel:WORD_1 src1_sel:DWORD
	v_add_f16_e32 v29, v36, v6
	v_mul_f16_sdwa v36, v9, v21 dst_sel:DWORD dst_unused:UNUSED_PAD src0_sel:WORD_1 src1_sel:DWORD
	v_add_f16_e32 v32, v32, v6
	v_add_f16_sdwa v34, v39, v6 dst_sel:DWORD dst_unused:UNUSED_PAD src0_sel:DWORD src1_sel:WORD_1
	v_fmamk_f16 v39, v7, 0x3beb, v38
	v_fmac_f16_e32 v38, 0xbbeb, v7
	v_fmamk_f16 v42, v7, 0x3a0c, v40
	v_fmac_f16_e32 v40, 0xba0c, v7
	v_pk_fma_f16 v44, 0xb482, v7, v16 op_sel:[0,0,1] op_sel_hi:[0,1,0]
	v_pk_fma_f16 v7, 0xb482, v7, v16 op_sel:[0,0,1] op_sel_hi:[0,1,0] neg_lo:[0,1,0] neg_hi:[0,1,0]
	v_fmamk_f16 v16, v9, 0x36a6, v20
	v_fmamk_f16 v45, v43, 0x3b47, v36
	v_add_f16_e32 v28, v28, v6
	v_add_f16_e32 v33, v33, v6
	v_add_f16_sdwa v39, v39, v6 dst_sel:DWORD dst_unused:UNUSED_PAD src0_sel:DWORD src1_sel:WORD_1
	v_add_f16_e32 v37, v37, v6
	v_add_f16_sdwa v38, v38, v6 dst_sel:DWORD dst_unused:UNUSED_PAD src0_sel:DWORD src1_sel:WORD_1
	;; [unrolled: 2-line block ×3, first 2 shown]
	v_add_f16_sdwa v40, v40, v6 dst_sel:DWORD dst_unused:UNUSED_PAD src0_sel:DWORD src1_sel:WORD_1
	v_pk_add_f16 v44, v44, v6 op_sel:[0,1] op_sel_hi:[1,0]
	v_pk_add_f16 v6, v7, v6 op_sel:[0,1] op_sel_hi:[1,0]
	v_add_f16_e32 v7, v16, v32
	v_add_f16_e32 v32, v45, v34
	v_mul_f16_sdwa v34, v9, v31 dst_sel:DWORD dst_unused:UNUSED_PAD src0_sel:WORD_1 src1_sel:DWORD
	v_mul_f16_sdwa v16, v43, v25 dst_sel:DWORD dst_unused:UNUSED_PAD src0_sel:WORD_1 src1_sel:DWORD
	v_fma_f16 v20, v9, 0x36a6, -v20
	v_fmac_f16_e32 v36, 0xbb47, v43
	s_barrier
	v_fmamk_f16 v47, v43, 0x3a0c, v34
	v_fmamk_f16 v45, v9, 0xb93d, v16
	v_add_f16_e32 v20, v20, v28
	v_add_f16_e32 v26, v36, v26
	v_mul_f16_sdwa v28, v43, v46 dst_sel:DWORD dst_unused:UNUSED_PAD src0_sel:WORD_1 src1_sel:DWORD
	v_add_f16_e32 v30, v47, v30
	v_mov_b32_e32 v36, 0xbbad
	v_fmac_f16_e32 v34, 0xba0c, v43
	v_mov_b32_e32 v47, 0x3beb
	v_add_f16_e32 v27, v45, v27
	v_fma_f16 v16, v9, 0xb93d, -v16
	v_fmamk_f16 v45, v9, 0xbbad, v28
	v_mul_f16_sdwa v48, v9, v36 dst_sel:DWORD dst_unused:UNUSED_PAD src0_sel:WORD_1 src1_sel:DWORD
	v_add_f16_e32 v23, v34, v23
	v_mul_f16_sdwa v34, v43, v47 dst_sel:DWORD dst_unused:UNUSED_PAD src0_sel:WORD_1 src1_sel:DWORD
	v_add_f16_e32 v16, v16, v33
	v_add_f16_e32 v33, v45, v35
	v_fmamk_f16 v35, v43, 0xb482, v48
	v_fma_f16 v28, v9, 0xbbad, -v28
	v_fmamk_f16 v49, v9, 0xb08e, v34
	v_fmac_f16_e32 v48, 0x3482, v43
	v_mul_f16_sdwa v45, v9, v24 dst_sel:DWORD dst_unused:UNUSED_PAD src0_sel:WORD_1 src1_sel:DWORD
	v_add_f16_e32 v35, v35, v39
	v_fma_f16 v34, v9, 0xb08e, -v34
	v_add_f16_e32 v39, v49, v41
	v_pk_add_f16 v41, v10, v15 neg_lo:[0,1] neg_hi:[0,1]
	v_pk_add_f16 v10, v15, v10
	v_add_f16_e32 v28, v28, v37
	v_add_f16_e32 v37, v48, v38
	v_fmamk_f16 v38, v43, 0xbbeb, v45
	v_pk_mul_f16 v9, 0x3abb, v9 op_sel_hi:[0,1]
	v_add_f16_e32 v29, v34, v29
	v_mul_f16_sdwa v22, v41, v22 dst_sel:DWORD dst_unused:UNUSED_PAD src0_sel:WORD_1 src1_sel:DWORD
	v_mul_f16_sdwa v34, v10, v24 dst_sel:DWORD dst_unused:UNUSED_PAD src0_sel:WORD_1 src1_sel:DWORD
	v_add_f16_e32 v15, v38, v42
	v_fmac_f16_e32 v45, 0x3beb, v43
	v_pk_fma_f16 v38, 0x3853, v43, v9 op_sel:[0,0,1] op_sel_hi:[0,1,0]
	v_pk_fma_f16 v9, 0x3853, v43, v9 op_sel:[0,0,1] op_sel_hi:[0,1,0] neg_lo:[0,1,0] neg_hi:[0,1,0]
	v_fmamk_f16 v42, v10, 0xb08e, v22
	v_fmamk_f16 v43, v41, 0x3beb, v34
	v_fma_f16 v22, v10, 0xb08e, -v22
	v_fmac_f16_e32 v34, 0xbbeb, v41
	v_pk_add_f16 v6, v9, v6
	v_add_f16_e32 v7, v42, v7
	v_add_f16_e32 v9, v43, v32
	v_mul_f16_sdwa v32, v41, v46 dst_sel:DWORD dst_unused:UNUSED_PAD src0_sel:WORD_1 src1_sel:DWORD
	v_mov_b32_e32 v42, 0x3b47
	v_pk_add_f16 v38, v38, v44
	v_mul_f16_sdwa v43, v10, v36 dst_sel:DWORD dst_unused:UNUSED_PAD src0_sel:WORD_1 src1_sel:DWORD
	v_add_f16_e32 v20, v22, v20
	v_fmamk_f16 v44, v10, 0xbbad, v32
	v_add_f16_e32 v22, v34, v26
	v_mul_f16_sdwa v26, v41, v42 dst_sel:DWORD dst_unused:UNUSED_PAD src0_sel:WORD_1 src1_sel:DWORD
	v_fmamk_f16 v34, v41, 0xb482, v43
	v_fma_f16 v32, v10, 0xbbad, -v32
	v_add_f16_e32 v27, v44, v27
	v_fmac_f16_e32 v43, 0x3482, v41
	v_fmamk_f16 v44, v10, 0x36a6, v26
	v_add_f16_e32 v30, v34, v30
	v_mul_f16_sdwa v34, v10, v21 dst_sel:DWORD dst_unused:UNUSED_PAD src0_sel:WORD_1 src1_sel:DWORD
	v_add_f16_e32 v16, v32, v16
	v_add_f16_e32 v40, v45, v40
	v_add_f16_e32 v32, v44, v33
	v_mul_f16_sdwa v33, v41, v18 dst_sel:DWORD dst_unused:UNUSED_PAD src0_sel:WORD_1 src1_sel:DWORD
	v_add_f16_e32 v23, v43, v23
	v_fmamk_f16 v43, v41, 0xbb47, v34
	v_fmac_f16_e32 v34, 0x3b47, v41
	v_fma_f16 v26, v10, 0x36a6, -v26
	v_fmamk_f16 v45, v10, 0x3abb, v33
	v_mul_f16_sdwa v44, v10, v19 dst_sel:DWORD dst_unused:UNUSED_PAD src0_sel:WORD_1 src1_sel:DWORD
	v_fma_f16 v33, v10, 0x3abb, -v33
	v_add_f16_e32 v34, v34, v37
	v_add_f16_e32 v26, v26, v28
	;; [unrolled: 1-line block ×3, first 2 shown]
	v_pk_add_f16 v39, v11, v14 neg_lo:[0,1] neg_hi:[0,1]
	v_fmamk_f16 v28, v41, 0x3853, v44
	v_pk_mul_f16 v10, 0xb93d, v10 op_sel_hi:[0,1]
	v_pk_add_f16 v11, v14, v11
	v_fmac_f16_e32 v44, 0xb853, v41
	v_mul_f16_sdwa v14, v39, v25 dst_sel:DWORD dst_unused:UNUSED_PAD src0_sel:WORD_1 src1_sel:DWORD
	v_add_f16_e32 v15, v28, v15
	v_add_f16_e32 v28, v33, v29
	v_pk_fma_f16 v29, 0xba0c, v41, v10 op_sel:[0,0,1] op_sel_hi:[0,1,0]
	v_pk_fma_f16 v10, 0xba0c, v41, v10 op_sel:[0,0,1] op_sel_hi:[0,1,0] neg_lo:[0,1,0] neg_hi:[0,1,0]
	v_fmamk_f16 v33, v11, 0xb93d, v14
	v_mul_f16_sdwa v41, v11, v31 dst_sel:DWORD dst_unused:UNUSED_PAD src0_sel:WORD_1 src1_sel:DWORD
	v_mul_f16_sdwa v24, v11, v24 dst_sel:DWORD dst_unused:UNUSED_PAD src0_sel:WORD_1 src1_sel:DWORD
	v_pk_add_f16 v29, v29, v38
	v_pk_add_f16 v6, v10, v6
	v_add_f16_e32 v7, v33, v7
	v_fmamk_f16 v10, v39, 0x3a0c, v41
	v_mul_f16_sdwa v33, v39, v47 dst_sel:DWORD dst_unused:UNUSED_PAD src0_sel:WORD_1 src1_sel:DWORD
	v_fma_f16 v14, v11, 0xb93d, -v14
	v_fmac_f16_e32 v41, 0xba0c, v39
	v_fmamk_f16 v38, v39, 0xbbeb, v24
	v_mul_f16_sdwa v18, v39, v18 dst_sel:DWORD dst_unused:UNUSED_PAD src0_sel:WORD_1 src1_sel:DWORD
	v_add_f16_e32 v9, v10, v9
	v_fmamk_f16 v10, v11, 0xb08e, v33
	v_add_f16_e32 v14, v14, v20
	v_add_f16_e32 v20, v41, v22
	v_add_f16_e32 v22, v38, v30
	v_fmac_f16_e32 v24, 0x3beb, v39
	v_fmamk_f16 v30, v11, 0x3abb, v18
	v_mul_f16_sdwa v38, v11, v19 dst_sel:DWORD dst_unused:UNUSED_PAD src0_sel:WORD_1 src1_sel:DWORD
	v_add_f16_e32 v35, v43, v35
	v_add_f16_e32 v10, v10, v27
	v_fma_f16 v27, v11, 0xb08e, -v33
	v_mov_b32_e32 v33, 0xb482
	v_add_f16_e32 v23, v24, v23
	v_add_f16_e32 v24, v30, v32
	v_fmamk_f16 v30, v39, 0x3853, v38
	v_mul_f16_sdwa v32, v11, v36 dst_sel:DWORD dst_unused:UNUSED_PAD src0_sel:WORD_1 src1_sel:DWORD
	v_add_f16_e32 v16, v27, v16
	v_mul_f16_sdwa v27, v39, v33 dst_sel:DWORD dst_unused:UNUSED_PAD src0_sel:WORD_1 src1_sel:DWORD
	v_add_f16_e32 v40, v44, v40
	v_add_f16_e32 v30, v30, v35
	v_fmamk_f16 v35, v39, 0x3482, v32
	v_fma_f16 v18, v11, 0x3abb, -v18
	v_fmamk_f16 v41, v11, 0xbbad, v27
	v_fma_f16 v27, v11, 0xbbad, -v27
	v_fmac_f16_e32 v32, 0xb482, v39
	v_add_f16_e32 v15, v35, v15
	v_pk_add_f16 v35, v12, v13 neg_lo:[0,1] neg_hi:[0,1]
	v_pk_mul_f16 v11, 0x36a6, v11 op_sel_hi:[0,1]
	v_pk_add_f16 v12, v13, v12
	v_add_f16_e32 v27, v27, v28
	v_add_f16_e32 v13, v32, v40
	v_mul_f16_sdwa v28, v35, v33 dst_sel:DWORD dst_unused:UNUSED_PAD src0_sel:WORD_1 src1_sel:DWORD
	v_pk_fma_f16 v32, 0x3b47, v39, v11 op_sel:[0,0,1] op_sel_hi:[0,1,0]
	v_pk_fma_f16 v11, 0x3b47, v39, v11 op_sel:[0,0,1] op_sel_hi:[0,1,0] neg_lo:[0,1,0] neg_hi:[0,1,0]
	v_mul_f16_sdwa v33, v12, v36 dst_sel:DWORD dst_unused:UNUSED_PAD src0_sel:WORD_1 src1_sel:DWORD
	v_mov_b32_e32 v36, 0x3853
	v_fmac_f16_e32 v38, 0xb853, v39
	v_pk_add_f16 v29, v32, v29
	v_pk_add_f16 v6, v11, v6
	v_fmamk_f16 v11, v35, 0x3482, v33
	v_mul_f16_sdwa v32, v35, v36 dst_sel:DWORD dst_unused:UNUSED_PAD src0_sel:WORD_1 src1_sel:DWORD
	v_mul_f16_sdwa v19, v12, v19 dst_sel:DWORD dst_unused:UNUSED_PAD src0_sel:WORD_1 src1_sel:DWORD
	v_add_f16_e32 v18, v18, v26
	v_add_f16_e32 v26, v38, v34
	;; [unrolled: 1-line block ×3, first 2 shown]
	v_fmamk_f16 v11, v12, 0x3abb, v32
	v_add_f16_e32 v34, v41, v37
	v_fmamk_f16 v37, v12, 0xbbad, v28
	v_fma_f16 v28, v12, 0xbbad, -v28
	v_mul_f16_sdwa v25, v35, v25 dst_sel:DWORD dst_unused:UNUSED_PAD src0_sel:WORD_1 src1_sel:DWORD
	v_add_f16_e32 v10, v11, v10
	v_fmamk_f16 v11, v35, 0xb853, v19
	v_fmac_f16_e32 v19, 0x3853, v35
	v_mul_f16_sdwa v31, v12, v31 dst_sel:DWORD dst_unused:UNUSED_PAD src0_sel:WORD_1 src1_sel:DWORD
	v_add_f16_e32 v14, v28, v14
	v_fma_f16 v28, v12, 0x3abb, -v32
	v_fmamk_f16 v32, v12, 0xb93d, v25
	v_add_f16_e32 v19, v19, v23
	v_fmamk_f16 v23, v35, 0x3a0c, v31
	v_fma_f16 v25, v12, 0xb93d, -v25
	v_fmac_f16_e32 v31, 0xba0c, v35
	v_mul_f16_sdwa v21, v12, v21 dst_sel:DWORD dst_unused:UNUSED_PAD src0_sel:WORD_1 src1_sel:DWORD
	v_add_f16_e32 v7, v37, v7
	v_add_f16_e32 v23, v23, v30
	;; [unrolled: 1-line block ×4, first 2 shown]
	v_fmamk_f16 v26, v35, 0xbb47, v21
	v_pk_mul_f16 v30, 0xb08e, v12 op_sel_hi:[0,1]
	v_fmac_f16_e32 v21, 0x3b47, v35
	v_add_f16_e32 v11, v11, v22
	v_add_f16_e32 v22, v32, v24
	;; [unrolled: 1-line block ×3, first 2 shown]
	v_pk_fma_f16 v26, 0xbbeb, v35, v30 op_sel:[0,0,1] op_sel_hi:[0,1,0] neg_lo:[0,1,0] neg_hi:[0,1,0]
	v_add_f16_e32 v13, v21, v13
	v_mul_u32_u24_e32 v21, 0x1746, v0
	v_mul_f16_sdwa v24, v35, v42 dst_sel:DWORD dst_unused:UNUSED_PAD src0_sel:WORD_1 src1_sel:DWORD
	v_pack_b32_f16 v10, v10, v11
	v_pk_add_f16 v26, v26, v6
	v_pack_b32_f16 v7, v7, v9
	v_lshrrev_b32_e32 v6, 16, v21
	v_fmac_f16_e32 v33, 0xb482, v35
	v_add_f16_e32 v16, v28, v16
	v_fmamk_f16 v28, v12, 0x36a6, v24
	v_fma_f16 v12, v12, 0x36a6, -v24
	v_mul_lo_u16 v9, v6, 11
	buffer_gl0_inv
	ds_write2_b32 v8, v7, v10 offset0:1 offset1:2
	v_pk_fma_f16 v24, 0xbbeb, v35, v30 op_sel:[0,0,1] op_sel_hi:[0,1,0]
	v_add_f16_e32 v20, v33, v20
	v_sub_nc_u16 v7, v0, v9
	v_mov_b32_e32 v9, 10
	v_add_f16_e32 v28, v28, v34
	v_add_f16_e32 v12, v12, v27
	v_pk_add_f16 v24, v24, v29
	v_pack_b32_f16 v11, v22, v23
	v_mul_u32_u24_sdwa v9, v7, v9 dst_sel:DWORD dst_unused:UNUSED_PAD src0_sel:WORD_0 src1_sel:DWORD
	v_pack_b32_f16 v10, v28, v15
	v_pack_b32_f16 v12, v12, v13
	;; [unrolled: 1-line block ×4, first 2 shown]
	v_lshlrev_b32_e32 v16, 2, v9
	ds_write_b32 v8, v17
	v_alignbit_b32 v15, v24, v26, 16
	v_alignbit_b32 v17, v26, v24, 16
	v_pack_b32_f16 v18, v18, v25
	ds_write2_b32 v8, v11, v10 offset0:3 offset1:4
	ds_write2_b32 v8, v17, v15 offset0:5 offset1:6
	;; [unrolled: 1-line block ×4, first 2 shown]
	s_waitcnt lgkmcnt(0)
	s_barrier
	buffer_gl0_inv
	s_clause 0x2
	global_load_dwordx4 v[8:11], v16, s[8:9]
	global_load_dwordx4 v[12:15], v16, s[8:9] offset:16
	global_load_dwordx2 v[16:17], v16, s[8:9] offset:32
	ds_read2_b32 v[18:19], v4 offset0:86 offset1:207
	ds_read2_b32 v[20:21], v5 offset0:72 offset1:193
	ds_read_b32 v28, v3 offset:4840
	ds_read2_b32 v[22:23], v3 offset1:121
	ds_read2_b32 v[24:25], v1 offset0:114 offset1:235
	ds_read2_b32 v[26:27], v2 offset0:100 offset1:221
	v_mul_u32_u24_e32 v6, 0x1e4, v6
	s_waitcnt vmcnt(0) lgkmcnt(0)
	s_barrier
	buffer_gl0_inv
	s_mul_i32 s1, s7, s3
	s_mul_hi_u32 s7, s6, s3
	s_mul_i32 s0, s6, s3
	s_add_i32 s1, s7, s1
	s_lshl_b64 s[0:1], s[0:1], 2
	s_add_u32 s3, s18, s0
	s_addc_u32 s6, s19, s1
	s_lshl_b64 s[0:1], s[4:5], 2
	v_lshrrev_b32_e32 v29, 16, v18
	v_lshrrev_b32_e32 v30, 16, v19
	;; [unrolled: 1-line block ×10, first 2 shown]
	s_add_u32 s0, s3, s0
	s_addc_u32 s1, s6, s1
	v_mul_f16_sdwa v39, v8, v34 dst_sel:DWORD dst_unused:UNUSED_PAD src0_sel:WORD_1 src1_sel:DWORD
	v_mul_f16_sdwa v40, v8, v23 dst_sel:DWORD dst_unused:UNUSED_PAD src0_sel:WORD_1 src1_sel:DWORD
	;; [unrolled: 1-line block ×4, first 2 shown]
	v_mul_f16_sdwa v49, v29, v13 dst_sel:DWORD dst_unused:UNUSED_PAD src0_sel:DWORD src1_sel:WORD_1
	v_mul_f16_sdwa v51, v30, v14 dst_sel:DWORD dst_unused:UNUSED_PAD src0_sel:DWORD src1_sel:WORD_1
	;; [unrolled: 1-line block ×4, first 2 shown]
	v_fmac_f16_e32 v39, v8, v23
	v_fma_f16 v8, v8, v34, -v40
	v_mul_f16_sdwa v43, v10, v36 dst_sel:DWORD dst_unused:UNUSED_PAD src0_sel:WORD_1 src1_sel:DWORD
	v_mul_f16_sdwa v44, v10, v25 dst_sel:DWORD dst_unused:UNUSED_PAD src0_sel:WORD_1 src1_sel:DWORD
	;; [unrolled: 1-line block ×3, first 2 shown]
	v_mul_f16_sdwa v50, v18, v13 dst_sel:DWORD dst_unused:UNUSED_PAD src0_sel:DWORD src1_sel:WORD_1
	v_mul_f16_sdwa v52, v19, v14 dst_sel:DWORD dst_unused:UNUSED_PAD src0_sel:DWORD src1_sel:WORD_1
	v_fmac_f16_e32 v41, v9, v24
	v_fma_f16 v9, v9, v35, -v42
	v_fmac_f16_e32 v49, v18, v13
	v_fmac_f16_e32 v51, v19, v14
	;; [unrolled: 1-line block ×3, first 2 shown]
	v_fma_f16 v16, v32, v16, -v56
	v_add_f16_e32 v18, v39, v22
	v_add_f16_sdwa v19, v8, v22 dst_sel:DWORD dst_unused:UNUSED_PAD src0_sel:DWORD src1_sel:WORD_1
	v_mul_f16_sdwa v45, v11, v37 dst_sel:DWORD dst_unused:UNUSED_PAD src0_sel:WORD_1 src1_sel:DWORD
	v_mul_f16_sdwa v46, v11, v26 dst_sel:DWORD dst_unused:UNUSED_PAD src0_sel:WORD_1 src1_sel:DWORD
	;; [unrolled: 1-line block ×3, first 2 shown]
	v_fmac_f16_e32 v43, v10, v25
	v_fma_f16 v10, v10, v36, -v44
	v_fmac_f16_e32 v47, v12, v27
	v_add_f16_e32 v25, v9, v16
	v_sub_f16_e32 v27, v9, v16
	v_add_f16_e32 v18, v18, v41
	v_add_f16_e32 v9, v19, v9
	v_fmac_f16_e32 v45, v11, v26
	v_fma_f16 v11, v11, v37, -v46
	v_fma_f16 v12, v12, v38, -v48
	v_add_f16_e32 v18, v18, v43
	v_add_f16_e32 v9, v9, v10
	v_fma_f16 v13, v29, v13, -v50
	v_mul_f16_sdwa v53, v31, v15 dst_sel:DWORD dst_unused:UNUSED_PAD src0_sel:DWORD src1_sel:WORD_1
	v_mul_f16_sdwa v54, v20, v15 dst_sel:DWORD dst_unused:UNUSED_PAD src0_sel:DWORD src1_sel:WORD_1
	v_add_f16_e32 v18, v18, v45
	v_add_f16_e32 v9, v9, v11
	v_mul_f16_sdwa v57, v33, v17 dst_sel:DWORD dst_unused:UNUSED_PAD src0_sel:DWORD src1_sel:WORD_1
	v_mul_f16_sdwa v58, v28, v17 dst_sel:DWORD dst_unused:UNUSED_PAD src0_sel:DWORD src1_sel:WORD_1
	v_fma_f16 v14, v30, v14, -v52
	v_add_f16_e32 v18, v18, v47
	v_add_f16_e32 v9, v9, v12
	v_fmac_f16_e32 v53, v20, v15
	v_fma_f16 v15, v31, v15, -v54
	v_fmac_f16_e32 v57, v28, v17
	v_add_f16_e32 v18, v18, v49
	v_add_f16_e32 v9, v9, v13
	v_fma_f16 v17, v33, v17, -v58
	v_add_f16_e32 v24, v41, v55
	v_add_f16_e32 v20, v39, v57
	;; [unrolled: 1-line block ×5, first 2 shown]
	v_sub_f16_e32 v8, v8, v17
	v_sub_f16_e32 v23, v39, v57
	v_add_f16_e32 v18, v18, v53
	v_add_f16_e32 v9, v9, v15
	v_mul_f16_e32 v28, 0x3abb, v21
	v_mul_f16_e32 v19, 0xb853, v8
	;; [unrolled: 1-line block ×10, first 2 shown]
	v_add_f16_e32 v18, v18, v55
	v_add_f16_e32 v9, v9, v16
	v_sub_f16_e32 v26, v41, v55
	v_mul_f16_e32 v35, 0xbb47, v27
	v_fmamk_f16 v37, v20, 0x3abb, v19
	v_fmamk_f16 v38, v23, 0x3853, v28
	v_fma_f16 v19, v20, 0x3abb, -v19
	v_fmac_f16_e32 v28, 0xb853, v23
	v_fmamk_f16 v39, v20, 0x36a6, v29
	v_fmamk_f16 v40, v23, 0x3b47, v30
	v_fma_f16 v29, v20, 0x36a6, -v29
	v_fmac_f16_e32 v30, 0xbb47, v23
	;; [unrolled: 4-line block ×5, first 2 shown]
	v_add_f16_e32 v18, v18, v57
	v_add_f16_sdwa v9, v9, v17 dst_sel:WORD_1 dst_unused:UNUSED_PAD src0_sel:DWORD src1_sel:DWORD
	v_mul_f16_e32 v36, 0x36a6, v25
	v_add_f16_e32 v20, v37, v22
	v_add_f16_sdwa v23, v38, v22 dst_sel:DWORD dst_unused:UNUSED_PAD src0_sel:DWORD src1_sel:WORD_1
	v_add_f16_e32 v19, v19, v22
	v_add_f16_sdwa v28, v28, v22 dst_sel:DWORD dst_unused:UNUSED_PAD src0_sel:DWORD src1_sel:WORD_1
	;; [unrolled: 2-line block ×9, first 2 shown]
	v_or_b32_sdwa v9, v9, v18 dst_sel:DWORD dst_unused:UNUSED_PAD src0_sel:DWORD src1_sel:WORD_0
	v_fmamk_f16 v18, v24, 0x36a6, v35
	v_add_f16_e32 v8, v8, v22
	v_add_f16_sdwa v21, v21, v22 dst_sel:DWORD dst_unused:UNUSED_PAD src0_sel:DWORD src1_sel:WORD_1
	v_mul_f16_e32 v22, 0xba0c, v27
	v_fmamk_f16 v44, v26, 0x3b47, v36
	v_add_f16_e32 v18, v18, v20
	v_fma_f16 v20, v24, 0x36a6, -v35
	v_fmac_f16_e32 v36, 0xbb47, v26
	v_fmamk_f16 v35, v24, 0xb93d, v22
	v_add_f16_e32 v23, v44, v23
	v_mul_f16_e32 v44, 0xb93d, v25
	v_add_f16_e32 v19, v20, v19
	v_add_f16_e32 v20, v36, v28
	v_add_f16_e32 v28, v35, v37
	v_mul_f16_e32 v35, 0x3482, v27
	v_fmamk_f16 v36, v26, 0x3a0c, v44
	v_fma_f16 v22, v24, 0xb93d, -v22
	v_fmac_f16_e32 v44, 0xba0c, v26
	v_mul_f16_e32 v37, 0xbbad, v25
	v_fmamk_f16 v46, v24, 0xbbad, v35
	v_add_f16_e32 v36, v36, v38
	v_add_f16_e32 v22, v22, v29
	v_add_f16_e32 v29, v44, v30
	v_fmamk_f16 v30, v26, 0xb482, v37
	v_add_f16_e32 v38, v46, v39
	v_mul_f16_e32 v39, 0x3beb, v27
	v_fmac_f16_e32 v37, 0x3482, v26
	v_fma_f16 v35, v24, 0xbbad, -v35
	v_add_f16_e32 v30, v30, v40
	v_mul_f16_e32 v40, 0xb08e, v25
	v_mul_f16_e32 v27, 0x3853, v27
	v_add_f16_e32 v16, v37, v16
	v_fma_f16 v37, v24, 0xb08e, -v39
	v_fmamk_f16 v44, v24, 0xb08e, v39
	v_add_f16_e32 v31, v35, v31
	v_fmamk_f16 v35, v26, 0xbbeb, v40
	v_fmac_f16_e32 v40, 0x3beb, v26
	v_fmamk_f16 v39, v24, 0x3abb, v27
	v_mul_f16_e32 v25, 0x3abb, v25
	v_add_f16_e32 v17, v37, v17
	v_sub_f16_e32 v37, v10, v15
	v_add_f16_e32 v10, v10, v15
	v_add_f16_e32 v33, v40, v33
	;; [unrolled: 1-line block ×3, first 2 shown]
	v_fmamk_f16 v39, v26, 0xb853, v25
	v_fma_f16 v24, v24, 0x3abb, -v27
	v_add_f16_e32 v15, v43, v53
	v_mul_f16_e32 v27, 0xbbeb, v37
	v_fmac_f16_e32 v25, 0x3853, v26
	v_sub_f16_e32 v26, v43, v53
	v_mul_f16_e32 v40, 0xb08e, v10
	v_add_f16_e32 v35, v35, v41
	v_fmamk_f16 v41, v15, 0xb08e, v27
	v_add_f16_e32 v8, v24, v8
	v_add_f16_e32 v21, v25, v21
	v_fmamk_f16 v24, v26, 0x3beb, v40
	v_mul_f16_e32 v25, 0x3482, v37
	v_fma_f16 v27, v15, 0xb08e, -v27
	v_add_f16_e32 v18, v41, v18
	v_fmac_f16_e32 v40, 0xbbeb, v26
	v_add_f16_e32 v23, v24, v23
	v_fmamk_f16 v24, v15, 0xbbad, v25
	v_mul_f16_e32 v41, 0xbbad, v10
	v_add_f16_e32 v19, v27, v19
	v_mul_f16_e32 v27, 0x3b47, v37
	v_add_f16_e32 v39, v39, v42
	v_add_f16_e32 v20, v40, v20
	;; [unrolled: 1-line block ×3, first 2 shown]
	v_fmamk_f16 v28, v26, 0xb482, v41
	v_fma_f16 v25, v15, 0xbbad, -v25
	v_fmac_f16_e32 v41, 0x3482, v26
	v_fmamk_f16 v40, v15, 0x36a6, v27
	v_mul_f16_e32 v42, 0x36a6, v10
	v_add_f16_e32 v28, v28, v36
	v_add_f16_e32 v22, v25, v22
	;; [unrolled: 1-line block ×4, first 2 shown]
	v_fmamk_f16 v36, v26, 0xbb47, v42
	v_mul_f16_e32 v38, 0xb853, v37
	v_add_f16_e32 v32, v44, v32
	v_fma_f16 v27, v15, 0x36a6, -v27
	v_mul_f16_e32 v40, 0x3abb, v10
	v_add_f16_e32 v30, v36, v30
	v_fmamk_f16 v36, v15, 0x3abb, v38
	v_mul_f16_e32 v37, 0xba0c, v37
	v_add_f16_e32 v27, v27, v31
	v_fmamk_f16 v31, v26, 0x3853, v40
	v_mul_f16_e32 v10, 0xb93d, v10
	v_add_f16_e32 v32, v36, v32
	v_fma_f16 v36, v15, 0x3abb, -v38
	v_fmac_f16_e32 v42, 0x3b47, v26
	v_add_f16_e32 v31, v31, v35
	v_fmamk_f16 v35, v15, 0xb93d, v37
	v_fmac_f16_e32 v40, 0xb853, v26
	v_add_f16_e32 v17, v36, v17
	v_sub_f16_e32 v36, v11, v14
	v_add_f16_e32 v11, v11, v14
	v_add_f16_e32 v34, v35, v34
	v_fmamk_f16 v35, v26, 0x3a0c, v10
	v_fma_f16 v15, v15, 0xb93d, -v37
	v_fmac_f16_e32 v10, 0xba0c, v26
	v_sub_f16_e32 v26, v45, v51
	v_mul_f16_e32 v37, 0xb93d, v11
	v_add_f16_e32 v38, v45, v51
	v_mul_f16_e32 v14, 0xba0c, v36
	v_add_f16_e32 v8, v15, v8
	v_add_f16_e32 v33, v40, v33
	v_fmamk_f16 v15, v26, 0x3a0c, v37
	v_add_f16_e32 v10, v10, v21
	v_fmamk_f16 v40, v38, 0xb93d, v14
	v_mul_f16_e32 v21, 0x3beb, v36
	v_fma_f16 v14, v38, 0xb93d, -v14
	v_fmac_f16_e32 v37, 0xba0c, v26
	v_add_f16_e32 v15, v15, v23
	v_mul_f16_e32 v23, 0xb08e, v11
	v_add_f16_e32 v35, v35, v39
	v_fmamk_f16 v39, v38, 0xb08e, v21
	v_add_f16_e32 v14, v14, v19
	v_add_f16_e32 v19, v37, v20
	v_mul_f16_e32 v20, 0xb853, v36
	v_fmamk_f16 v37, v26, 0xbbeb, v23
	v_fma_f16 v21, v38, 0xb08e, -v21
	v_fmac_f16_e32 v23, 0x3beb, v26
	v_add_f16_e32 v24, v39, v24
	v_fmamk_f16 v39, v38, 0x3abb, v20
	v_add_f16_e32 v28, v37, v28
	v_mul_f16_e32 v37, 0x3abb, v11
	v_add_f16_e32 v21, v21, v22
	v_add_f16_e32 v22, v23, v25
	v_mul_f16_e32 v25, 0xb482, v36
	v_add_f16_e32 v18, v40, v18
	v_add_f16_e32 v23, v39, v29
	v_fmamk_f16 v29, v26, 0x3853, v37
	v_fma_f16 v20, v38, 0x3abb, -v20
	v_mul_f16_e32 v39, 0xbbad, v11
	v_fmamk_f16 v40, v38, 0xbbad, v25
	v_fma_f16 v25, v38, 0xbbad, -v25
	v_add_f16_e32 v29, v29, v30
	v_add_f16_e32 v20, v20, v27
	v_fmamk_f16 v27, v26, 0x3482, v39
	v_add_f16_e32 v30, v40, v32
	v_mul_f16_e32 v32, 0x3b47, v36
	v_add_f16_e32 v16, v42, v16
	v_fmac_f16_e32 v37, 0xb853, v26
	v_add_f16_e32 v27, v27, v31
	v_mul_f16_e32 v11, 0x36a6, v11
	v_fmamk_f16 v31, v38, 0x36a6, v32
	v_add_f16_e32 v17, v25, v17
	v_sub_f16_e32 v25, v12, v13
	v_add_f16_e32 v16, v37, v16
	v_fmamk_f16 v36, v26, 0xbb47, v11
	v_add_f16_e32 v31, v31, v34
	v_add_f16_e32 v34, v47, v49
	v_mul_f16_e32 v37, 0xb482, v25
	v_add_f16_e32 v12, v12, v13
	v_fmac_f16_e32 v39, 0xb482, v26
	v_add_f16_e32 v35, v36, v35
	v_fma_f16 v13, v38, 0x36a6, -v32
	v_fmac_f16_e32 v11, 0x3b47, v26
	v_fmamk_f16 v26, v34, 0xbbad, v37
	v_sub_f16_e32 v32, v47, v49
	v_mul_f16_e32 v36, 0xbbad, v12
	v_add_f16_e32 v8, v13, v8
	v_add_f16_e32 v10, v11, v10
	;; [unrolled: 1-line block ×3, first 2 shown]
	v_mul_f16_e32 v13, 0x3853, v25
	v_fmamk_f16 v18, v32, 0x3482, v36
	v_fma_f16 v26, v34, 0xbbad, -v37
	v_fmac_f16_e32 v36, 0xb482, v32
	v_mul_f16_e32 v37, 0x3abb, v12
	v_fmamk_f16 v38, v34, 0x3abb, v13
	v_add_f16_e32 v15, v18, v15
	v_add_f16_e32 v14, v26, v14
	v_add_f16_e32 v18, v36, v19
	v_fmamk_f16 v19, v32, 0xb853, v37
	v_mul_f16_e32 v26, 0xba0c, v25
	v_fma_f16 v13, v34, 0x3abb, -v13
	v_fmac_f16_e32 v37, 0x3853, v32
	v_add_f16_e32 v24, v38, v24
	v_add_f16_e32 v19, v19, v28
	v_fmamk_f16 v36, v34, 0xb93d, v26
	v_add_f16_e32 v13, v13, v21
	v_add_f16_e32 v21, v37, v22
	v_mul_f16_e32 v22, 0x3b47, v25
	v_fma_f16 v26, v34, 0xb93d, -v26
	v_add_f16_e32 v23, v36, v23
	v_mul_f16_e32 v25, 0xbbeb, v25
	v_mul_f16_e32 v28, 0xb93d, v12
	v_fmamk_f16 v36, v34, 0x36a6, v22
	v_add_f16_e32 v20, v26, v20
	v_fma_f16 v22, v34, 0x36a6, -v22
	v_pack_b32_f16 v11, v11, v15
	v_fmamk_f16 v37, v32, 0x3a0c, v28
	v_add_f16_e32 v26, v36, v30
	v_fmamk_f16 v30, v34, 0xb08e, v25
	v_fma_f16 v25, v34, 0xb08e, -v25
	v_fmac_f16_e32 v28, 0xba0c, v32
	v_add_f16_e32 v29, v37, v29
	v_mul_f16_e32 v37, 0x36a6, v12
	v_add_f16_e32 v30, v30, v31
	v_mov_b32_e32 v31, 2
	v_mul_f16_e32 v12, 0xb08e, v12
	v_add_f16_e32 v8, v25, v8
	v_mul_u32_u24_e32 v25, 0x21e, v0
	v_add_f16_e32 v17, v22, v17
	v_lshlrev_b32_sdwa v7, v31, v7 dst_sel:DWORD dst_unused:UNUSED_PAD src0_sel:DWORD src1_sel:WORD_0
	v_fmamk_f16 v22, v32, 0x3beb, v12
	v_fmac_f16_e32 v12, 0xbbeb, v32
	v_add_f16_e32 v16, v28, v16
	v_fmamk_f16 v28, v32, 0xbb47, v37
	v_add3_u32 v7, 0, v6, v7
	v_lshrrev_b32_e32 v6, 16, v25
	v_add_f16_e32 v10, v12, v10
	v_pack_b32_f16 v12, v24, v19
	v_add_f16_e32 v33, v39, v33
	v_fmac_f16_e32 v37, 0x3b47, v32
	v_mul_lo_u16 v19, 0x79, v6
	v_pack_b32_f16 v15, v23, v29
	v_add_f16_e32 v27, v28, v27
	v_add_f16_e32 v22, v22, v35
	ds_write2_b32 v7, v9, v11 offset1:11
	ds_write2_b32 v7, v12, v15 offset0:22 offset1:33
	v_sub_nc_u16 v12, v0, v19
	v_add_f16_e32 v28, v37, v33
	v_pack_b32_f16 v9, v26, v27
	v_pack_b32_f16 v11, v30, v22
	;; [unrolled: 1-line block ×3, first 2 shown]
	v_mul_lo_u16 v12, v12, 10
	v_pack_b32_f16 v10, v17, v28
	v_pack_b32_f16 v15, v20, v16
	;; [unrolled: 1-line block ×4, first 2 shown]
	ds_write2_b32 v7, v9, v11 offset0:44 offset1:55
	ds_write2_b32 v7, v8, v10 offset0:66 offset1:77
	;; [unrolled: 1-line block ×3, first 2 shown]
	v_lshlrev_b32_sdwa v15, v31, v12 dst_sel:DWORD dst_unused:UNUSED_PAD src0_sel:DWORD src1_sel:WORD_0
	ds_write_b32 v7, v14 offset:440
	s_waitcnt lgkmcnt(0)
	s_barrier
	buffer_gl0_inv
	s_clause 0x2
	global_load_dwordx4 v[7:10], v15, s[8:9] offset:440
	global_load_dwordx4 v[11:14], v15, s[8:9] offset:456
	global_load_dwordx2 v[15:16], v15, s[8:9] offset:472
	ds_read2_b32 v[17:18], v4 offset0:86 offset1:207
	ds_read2_b32 v[4:5], v5 offset0:72 offset1:193
	ds_read_b32 v23, v3 offset:4840
	ds_read2_b32 v[19:20], v3 offset1:121
	ds_read2_b32 v[21:22], v1 offset0:114 offset1:235
	ds_read2_b32 v[1:2], v2 offset0:100 offset1:221
	s_waitcnt lgkmcnt(5)
	v_lshrrev_b32_e32 v3, 16, v17
	v_lshrrev_b32_e32 v24, 16, v18
	s_waitcnt lgkmcnt(4)
	v_lshrrev_b32_e32 v26, 16, v5
	s_waitcnt lgkmcnt(2)
	;; [unrolled: 2-line block ×4, first 2 shown]
	v_lshrrev_b32_e32 v31, 16, v1
	v_lshrrev_b32_e32 v32, 16, v2
	;; [unrolled: 1-line block ×5, first 2 shown]
	s_waitcnt vmcnt(2)
	v_mul_f16_sdwa v33, v7, v28 dst_sel:DWORD dst_unused:UNUSED_PAD src0_sel:WORD_1 src1_sel:DWORD
	v_mul_f16_sdwa v34, v7, v20 dst_sel:DWORD dst_unused:UNUSED_PAD src0_sel:WORD_1 src1_sel:DWORD
	;; [unrolled: 1-line block ×6, first 2 shown]
	s_waitcnt vmcnt(1)
	v_mul_f16_sdwa v41, v11, v32 dst_sel:DWORD dst_unused:UNUSED_PAD src0_sel:WORD_1 src1_sel:DWORD
	v_mul_f16_sdwa v42, v11, v2 dst_sel:DWORD dst_unused:UNUSED_PAD src0_sel:WORD_1 src1_sel:DWORD
	v_mul_f16_sdwa v43, v3, v12 dst_sel:DWORD dst_unused:UNUSED_PAD src0_sel:DWORD src1_sel:WORD_1
	v_mul_f16_sdwa v44, v17, v12 dst_sel:DWORD dst_unused:UNUSED_PAD src0_sel:DWORD src1_sel:WORD_1
	;; [unrolled: 1-line block ×4, first 2 shown]
	s_waitcnt vmcnt(0)
	v_mul_f16_sdwa v50, v5, v15 dst_sel:DWORD dst_unused:UNUSED_PAD src0_sel:DWORD src1_sel:WORD_1
	v_fmac_f16_e32 v33, v7, v20
	v_fma_f16 v7, v7, v28, -v34
	v_mul_f16_sdwa v37, v9, v30 dst_sel:DWORD dst_unused:UNUSED_PAD src0_sel:WORD_1 src1_sel:DWORD
	v_mul_f16_sdwa v38, v9, v22 dst_sel:DWORD dst_unused:UNUSED_PAD src0_sel:WORD_1 src1_sel:DWORD
	v_fmac_f16_e32 v35, v8, v21
	v_fma_f16 v8, v8, v29, -v36
	v_fmac_f16_e32 v39, v10, v1
	v_fma_f16 v1, v10, v31, -v40
	;; [unrolled: 2-line block ×5, first 2 shown]
	v_fma_f16 v11, v26, v15, -v50
	v_add_f16_e32 v12, v33, v19
	v_add_f16_sdwa v13, v7, v19 dst_sel:DWORD dst_unused:UNUSED_PAD src0_sel:DWORD src1_sel:WORD_1
	v_fmac_f16_e32 v37, v9, v22
	v_fma_f16 v9, v9, v30, -v38
	v_add_f16_e32 v18, v8, v11
	v_sub_f16_e32 v21, v8, v11
	v_add_f16_e32 v12, v12, v35
	v_add_f16_e32 v8, v13, v8
	v_mul_f16_sdwa v47, v25, v14 dst_sel:DWORD dst_unused:UNUSED_PAD src0_sel:DWORD src1_sel:WORD_1
	v_mul_f16_sdwa v48, v4, v14 dst_sel:DWORD dst_unused:UNUSED_PAD src0_sel:DWORD src1_sel:WORD_1
	;; [unrolled: 1-line block ×3, first 2 shown]
	v_add_f16_e32 v12, v12, v37
	v_add_f16_e32 v8, v8, v9
	v_mul_f16_sdwa v52, v23, v16 dst_sel:DWORD dst_unused:UNUSED_PAD src0_sel:DWORD src1_sel:WORD_1
	v_mul_f16_sdwa v51, v27, v16 dst_sel:DWORD dst_unused:UNUSED_PAD src0_sel:DWORD src1_sel:WORD_1
	v_fmac_f16_e32 v47, v4, v14
	v_add_f16_e32 v12, v12, v39
	v_add_f16_e32 v8, v8, v1
	v_fma_f16 v4, v25, v14, -v48
	v_fmac_f16_e32 v49, v5, v15
	v_fma_f16 v5, v27, v16, -v52
	v_add_f16_e32 v12, v12, v41
	v_add_f16_e32 v8, v8, v2
	v_fmac_f16_e32 v51, v23, v16
	v_add_f16_e32 v17, v35, v49
	v_add_f16_e32 v15, v7, v5
	;; [unrolled: 1-line block ×4, first 2 shown]
	v_sub_f16_e32 v7, v7, v5
	v_add_f16_e32 v14, v33, v51
	v_sub_f16_e32 v16, v33, v51
	v_add_f16_e32 v12, v12, v45
	v_add_f16_e32 v8, v8, v10
	v_mul_f16_e32 v13, 0xb853, v7
	v_mul_f16_e32 v22, 0x3abb, v15
	v_mul_f16_e32 v23, 0xbb47, v7
	v_add_f16_e32 v12, v12, v47
	v_add_f16_e32 v8, v8, v4
	v_mul_f16_e32 v24, 0x36a6, v15
	v_mul_f16_e32 v25, 0xbbeb, v7
	v_mul_f16_e32 v26, 0xb08e, v15
	;; [unrolled: 5-line block ×3, first 2 shown]
	v_mul_f16_e32 v15, 0xbbad, v15
	v_mul_f16_e32 v29, 0xbb47, v21
	v_fmamk_f16 v30, v14, 0x3abb, v13
	v_add_f16_e32 v12, v12, v51
	v_add_f16_sdwa v5, v8, v5 dst_sel:WORD_1 dst_unused:UNUSED_PAD src0_sel:DWORD src1_sel:DWORD
	v_sub_f16_e32 v20, v35, v49
	v_fmamk_f16 v31, v16, 0x3853, v22
	v_fma_f16 v13, v14, 0x3abb, -v13
	v_fmac_f16_e32 v22, 0xb853, v16
	v_fmamk_f16 v32, v14, 0x36a6, v23
	v_fmamk_f16 v33, v16, 0x3b47, v24
	v_fma_f16 v23, v14, 0x36a6, -v23
	v_fmac_f16_e32 v24, 0xbb47, v16
	v_fmamk_f16 v34, v14, 0xb08e, v25
	;; [unrolled: 4-line block ×5, first 2 shown]
	v_add_f16_e32 v16, v30, v19
	v_or_b32_sdwa v12, v5, v12 dst_sel:DWORD dst_unused:UNUSED_PAD src0_sel:DWORD src1_sel:WORD_0
	v_mul_f16_e32 v5, 0x36a6, v18
	v_add_f16_sdwa v30, v31, v19 dst_sel:DWORD dst_unused:UNUSED_PAD src0_sel:DWORD src1_sel:WORD_1
	v_add_f16_e32 v13, v13, v19
	v_add_f16_sdwa v22, v22, v19 dst_sel:DWORD dst_unused:UNUSED_PAD src0_sel:DWORD src1_sel:WORD_1
	v_add_f16_e32 v31, v32, v19
	;; [unrolled: 2-line block ×10, first 2 shown]
	v_fmamk_f16 v16, v20, 0x3b47, v5
	v_mul_f16_e32 v19, 0xba0c, v21
	v_fma_f16 v29, v17, 0x36a6, -v29
	v_fmac_f16_e32 v5, 0xbb47, v20
	v_mul_f16_e32 v38, 0xb93d, v18
	v_add_f16_e32 v16, v16, v30
	v_fmamk_f16 v30, v17, 0xb93d, v19
	v_add_f16_e32 v13, v29, v13
	v_add_f16_e32 v5, v5, v22
	v_fmamk_f16 v22, v20, 0x3a0c, v38
	v_mul_f16_e32 v29, 0x3482, v21
	v_fma_f16 v19, v17, 0xb93d, -v19
	v_fmac_f16_e32 v38, 0xba0c, v20
	v_add_f16_e32 v30, v30, v31
	v_mul_f16_e32 v40, 0xb08e, v18
	v_fmamk_f16 v31, v17, 0xbbad, v29
	v_add_f16_e32 v19, v19, v23
	v_add_f16_e32 v23, v38, v24
	v_mul_f16_e32 v24, 0x3beb, v21
	v_fma_f16 v29, v17, 0xbbad, -v29
	v_add_f16_e32 v22, v22, v32
	v_mul_f16_e32 v32, 0xbbad, v18
	v_add_f16_e32 v31, v31, v33
	v_fmamk_f16 v38, v17, 0xb08e, v24
	v_add_f16_e32 v11, v29, v11
	v_fmamk_f16 v29, v20, 0xbbeb, v40
	v_fma_f16 v24, v17, 0xb08e, -v24
	v_fmac_f16_e32 v40, 0x3beb, v20
	v_fmamk_f16 v33, v20, 0xb482, v32
	v_fmac_f16_e32 v32, 0x3482, v20
	v_mul_f16_e32 v21, 0x3853, v21
	v_mul_f16_e32 v18, 0x3abb, v18
	v_add_f16_e32 v24, v24, v27
	v_add_f16_e32 v27, v40, v28
	v_sub_f16_e32 v28, v9, v4
	v_add_f16_e32 v4, v9, v4
	v_add_f16_e32 v33, v33, v34
	;; [unrolled: 1-line block ×4, first 2 shown]
	v_fmamk_f16 v29, v17, 0x3abb, v21
	v_fmamk_f16 v32, v20, 0xb853, v18
	v_add_f16_e32 v34, v37, v47
	v_mul_f16_e32 v9, 0xbbeb, v28
	v_fma_f16 v17, v17, 0x3abb, -v21
	v_fmac_f16_e32 v18, 0x3853, v20
	v_sub_f16_e32 v20, v37, v47
	v_mul_f16_e32 v21, 0xb08e, v4
	v_add_f16_e32 v29, v29, v35
	v_fmamk_f16 v35, v34, 0xb08e, v9
	v_add_f16_e32 v7, v17, v7
	v_add_f16_e32 v15, v18, v15
	v_mul_f16_e32 v17, 0x3482, v28
	v_fmamk_f16 v18, v20, 0x3beb, v21
	v_add_f16_e32 v14, v35, v14
	v_fma_f16 v9, v34, 0xb08e, -v9
	v_fmac_f16_e32 v21, 0xbbeb, v20
	v_fmamk_f16 v35, v34, 0xbbad, v17
	v_add_f16_e32 v16, v18, v16
	v_mul_f16_e32 v18, 0xbbad, v4
	v_add_f16_e32 v9, v9, v13
	v_add_f16_e32 v5, v21, v5
	;; [unrolled: 1-line block ×3, first 2 shown]
	v_mul_f16_e32 v21, 0x3b47, v28
	v_fmamk_f16 v30, v20, 0xb482, v18
	v_fma_f16 v17, v34, 0xbbad, -v17
	v_mul_f16_e32 v35, 0x36a6, v4
	v_add_f16_e32 v32, v32, v36
	v_fmac_f16_e32 v18, 0x3482, v20
	v_fmamk_f16 v36, v34, 0x36a6, v21
	v_add_f16_e32 v22, v30, v22
	v_add_f16_e32 v17, v17, v19
	v_fmamk_f16 v19, v20, 0xbb47, v35
	v_mul_f16_e32 v30, 0xb853, v28
	v_fma_f16 v21, v34, 0x36a6, -v21
	v_fmac_f16_e32 v35, 0x3b47, v20
	v_add_f16_e32 v26, v38, v26
	v_add_f16_e32 v18, v18, v23
	;; [unrolled: 1-line block ×4, first 2 shown]
	v_mul_f16_e32 v31, 0x3abb, v4
	v_fmamk_f16 v33, v34, 0x3abb, v30
	v_add_f16_e32 v11, v21, v11
	v_add_f16_e32 v21, v35, v25
	v_mul_f16_e32 v25, 0xba0c, v28
	v_fmamk_f16 v28, v20, 0x3853, v31
	v_add_f16_e32 v26, v33, v26
	v_fma_f16 v30, v34, 0x3abb, -v30
	v_fmac_f16_e32 v31, 0xb853, v20
	v_fmamk_f16 v33, v34, 0xb93d, v25
	v_add_f16_e32 v8, v28, v8
	v_mul_f16_e32 v4, 0xb93d, v4
	v_add_f16_e32 v24, v30, v24
	v_add_f16_e32 v27, v31, v27
	;; [unrolled: 1-line block ×3, first 2 shown]
	v_sub_f16_e32 v29, v1, v10
	v_add_f16_e32 v1, v1, v10
	v_fmamk_f16 v30, v20, 0x3a0c, v4
	v_fma_f16 v25, v34, 0xb93d, -v25
	v_add_f16_e32 v10, v39, v45
	v_mul_f16_e32 v31, 0xba0c, v29
	v_fmac_f16_e32 v4, 0xba0c, v20
	v_sub_f16_e32 v20, v39, v45
	v_mul_f16_e32 v33, 0xb93d, v1
	v_add_f16_e32 v30, v30, v32
	v_fmamk_f16 v32, v10, 0xb93d, v31
	v_add_f16_e32 v7, v25, v7
	v_add_f16_e32 v4, v4, v15
	v_fmamk_f16 v15, v20, 0x3a0c, v33
	v_mul_f16_e32 v25, 0x3beb, v29
	v_fma_f16 v31, v10, 0xb93d, -v31
	v_add_f16_e32 v14, v32, v14
	v_fmac_f16_e32 v33, 0xba0c, v20
	v_add_f16_e32 v15, v15, v16
	v_fmamk_f16 v16, v10, 0xb08e, v25
	v_mul_f16_e32 v32, 0xb08e, v1
	v_add_f16_e32 v9, v31, v9
	v_mul_f16_e32 v31, 0xb853, v29
	v_add_f16_e32 v5, v33, v5
	v_add_f16_e32 v13, v16, v13
	v_fmamk_f16 v16, v20, 0xbbeb, v32
	v_fma_f16 v25, v10, 0xb08e, -v25
	v_fmac_f16_e32 v32, 0x3beb, v20
	v_fmamk_f16 v33, v10, 0x3abb, v31
	v_mul_f16_e32 v34, 0x3abb, v1
	v_add_f16_e32 v16, v16, v22
	v_add_f16_e32 v17, v25, v17
	;; [unrolled: 1-line block ×4, first 2 shown]
	v_fmamk_f16 v23, v20, 0x3853, v34
	v_mul_f16_e32 v25, 0xb482, v29
	v_fma_f16 v31, v10, 0x3abb, -v31
	v_mul_f16_e32 v32, 0xbbad, v1
	v_mul_f16_e32 v29, 0x3b47, v29
	v_add_f16_e32 v19, v23, v19
	v_fmamk_f16 v23, v10, 0xbbad, v25
	v_add_f16_e32 v11, v31, v11
	v_fmamk_f16 v31, v20, 0x3482, v32
	v_fma_f16 v25, v10, 0xbbad, -v25
	v_fmac_f16_e32 v32, 0xb482, v20
	v_add_f16_e32 v23, v23, v26
	v_fmamk_f16 v26, v10, 0x36a6, v29
	v_mul_f16_e32 v1, 0x36a6, v1
	v_add_f16_e32 v24, v25, v24
	v_add_f16_e32 v25, v32, v27
	v_sub_f16_e32 v27, v2, v3
	v_add_f16_e32 v2, v2, v3
	v_fmac_f16_e32 v34, 0xb853, v20
	v_add_f16_e32 v8, v31, v8
	v_add_f16_e32 v26, v26, v28
	v_fmamk_f16 v28, v20, 0xbb47, v1
	v_add_f16_e32 v31, v41, v43
	v_mul_f16_e32 v3, 0xb482, v27
	v_fma_f16 v10, v10, 0x36a6, -v29
	v_fmac_f16_e32 v1, 0x3b47, v20
	v_sub_f16_e32 v20, v41, v43
	v_mul_f16_e32 v29, 0xbbad, v2
	v_fmamk_f16 v32, v31, 0xbbad, v3
	v_add_f16_e32 v28, v28, v30
	v_add_f16_e32 v30, v1, v4
	;; [unrolled: 1-line block ×3, first 2 shown]
	v_fmamk_f16 v1, v20, 0x3482, v29
	v_add_f16_e32 v7, v32, v14
	v_fma_f16 v3, v31, 0xbbad, -v3
	v_mul_f16_e32 v4, 0x3853, v27
	v_fmac_f16_e32 v29, 0xb482, v20
	v_add_f16_e32 v14, v1, v15
	v_mul_f16_e32 v1, 0x3abb, v2
	v_add_f16_e32 v15, v3, v9
	v_fmamk_f16 v3, v31, 0x3abb, v4
	v_add_f16_e32 v29, v29, v5
	v_mul_f16_e32 v5, 0xba0c, v27
	v_fmamk_f16 v9, v20, 0xb853, v1
	v_fma_f16 v4, v31, 0x3abb, -v4
	v_add_f16_e32 v13, v3, v13
	v_fmac_f16_e32 v1, 0x3853, v20
	v_fmamk_f16 v3, v31, 0xb93d, v5
	v_add_f16_e32 v9, v9, v16
	v_add_f16_e32 v16, v4, v17
	v_mul_f16_e32 v4, 0xb93d, v2
	v_add_f16_e32 v17, v1, v18
	v_add_f16_e32 v18, v3, v22
	v_fma_f16 v5, v31, 0xb93d, -v5
	v_add_f16_e32 v21, v34, v21
	v_fmamk_f16 v22, v20, 0x3a0c, v4
	v_mul_f16_e32 v1, 0x3b47, v27
	v_mul_f16_e32 v3, 0x36a6, v2
	v_fmac_f16_e32 v4, 0xba0c, v20
	v_pack_b32_f16 v14, v7, v14
	v_add_f16_e32 v19, v22, v19
	v_add_f16_e32 v22, v5, v11
	v_mul_lo_u16 v5, 0x4ba, v6
	v_fmamk_f16 v32, v31, 0x36a6, v1
	v_fmamk_f16 v33, v20, 0xbb47, v3
	v_add_f16_e32 v21, v4, v21
	v_mul_f16_e32 v4, 0xbbeb, v27
	v_add_nc_u32_sdwa v0, v0, v5 dst_sel:DWORD dst_unused:UNUSED_PAD src0_sel:DWORD src1_sel:WORD_0
	v_fma_f16 v1, v31, 0x36a6, -v1
	v_add_f16_e32 v11, v32, v23
	v_add_f16_e32 v23, v33, v8
	v_mul_f16_e32 v8, 0xb08e, v2
	v_mul_lo_u32 v0, v0, s2
	v_fmac_f16_e32 v3, 0x3b47, v20
	v_fmamk_f16 v2, v31, 0xb08e, v4
	v_add_f16_e32 v24, v1, v24
	v_mov_b32_e32 v1, 0
	s_mulk_i32 s2, 0x79
	v_fmamk_f16 v5, v20, 0x3beb, v8
	v_add_f16_e32 v25, v3, v25
	v_add_f16_e32 v26, v2, v26
	v_lshlrev_b64 v[2:3], 2, v[0:1]
	v_add_nc_u32_e32 v0, s2, v0
	v_add_f16_e32 v27, v5, v28
	v_fma_f16 v28, v31, 0xb08e, -v4
	v_fmac_f16_e32 v8, 0xbbeb, v20
	v_lshlrev_b64 v[4:5], 2, v[0:1]
	v_add_nc_u32_e32 v0, s2, v0
	v_add_co_u32 v2, vcc_lo, s0, v2
	v_add_co_ci_u32_e32 v3, vcc_lo, s1, v3, vcc_lo
	v_add_co_u32 v4, vcc_lo, s0, v4
	v_lshlrev_b64 v[6:7], 2, v[0:1]
	v_add_nc_u32_e32 v0, s2, v0
	v_add_co_ci_u32_e32 v5, vcc_lo, s1, v5, vcc_lo
	global_store_dword v[2:3], v12, off
	global_store_dword v[4:5], v14, off
	v_lshlrev_b64 v[2:3], 2, v[0:1]
	v_add_nc_u32_e32 v0, s2, v0
	v_add_co_u32 v4, vcc_lo, s0, v6
	v_add_co_ci_u32_e32 v5, vcc_lo, s1, v7, vcc_lo
	v_lshlrev_b64 v[6:7], 2, v[0:1]
	v_add_nc_u32_e32 v0, s2, v0
	v_add_f16_e32 v20, v28, v10
	v_add_f16_e32 v28, v8, v30
	v_pack_b32_f16 v12, v13, v9
	v_add_co_u32 v2, vcc_lo, s0, v2
	v_lshlrev_b64 v[8:9], 2, v[0:1]
	v_add_nc_u32_e32 v0, s2, v0
	v_add_co_ci_u32_e32 v3, vcc_lo, s1, v3, vcc_lo
	v_add_co_u32 v6, vcc_lo, s0, v6
	v_add_co_ci_u32_e32 v7, vcc_lo, s1, v7, vcc_lo
	v_pack_b32_f16 v14, v11, v23
	v_lshlrev_b64 v[10:11], 2, v[0:1]
	v_add_nc_u32_e32 v0, s2, v0
	v_pack_b32_f16 v13, v18, v19
	v_add_co_u32 v8, vcc_lo, s0, v8
	v_add_co_ci_u32_e32 v9, vcc_lo, s1, v9, vcc_lo
	v_pack_b32_f16 v18, v26, v27
	global_store_dword v[4:5], v12, off
	global_store_dword v[2:3], v13, off
	;; [unrolled: 1-line block ×4, first 2 shown]
	v_lshlrev_b64 v[2:3], 2, v[0:1]
	v_add_nc_u32_e32 v0, s2, v0
	v_add_co_u32 v4, vcc_lo, s0, v10
	v_add_co_ci_u32_e32 v5, vcc_lo, s1, v11, vcc_lo
	v_lshlrev_b64 v[6:7], 2, v[0:1]
	v_add_nc_u32_e32 v0, s2, v0
	v_add_co_u32 v2, vcc_lo, s0, v2
	v_add_co_ci_u32_e32 v3, vcc_lo, s1, v3, vcc_lo
	;; [unrolled: 4-line block ×3, first 2 shown]
	v_lshlrev_b64 v[0:1], 2, v[0:1]
	v_add_co_u32 v8, vcc_lo, s0, v8
	v_pack_b32_f16 v10, v20, v28
	v_pack_b32_f16 v11, v24, v25
	v_add_co_ci_u32_e32 v9, vcc_lo, s1, v9, vcc_lo
	v_pack_b32_f16 v12, v22, v21
	v_add_co_u32 v0, vcc_lo, s0, v0
	v_pack_b32_f16 v13, v16, v17
	v_add_co_ci_u32_e32 v1, vcc_lo, s1, v1, vcc_lo
	v_pack_b32_f16 v14, v15, v29
	global_store_dword v[4:5], v10, off
	global_store_dword v[2:3], v11, off
	;; [unrolled: 1-line block ×5, first 2 shown]
	s_endpgm
	.section	.rodata,"a",@progbits
	.p2align	6, 0x0
	.amdhsa_kernel fft_rtc_back_len1331_factors_11_11_11_wgs_121_tpt_121_half_op_CI_CI_sbrc_unaligned_dirReg
		.amdhsa_group_segment_fixed_size 0
		.amdhsa_private_segment_fixed_size 0
		.amdhsa_kernarg_size 104
		.amdhsa_user_sgpr_count 6
		.amdhsa_user_sgpr_private_segment_buffer 1
		.amdhsa_user_sgpr_dispatch_ptr 0
		.amdhsa_user_sgpr_queue_ptr 0
		.amdhsa_user_sgpr_kernarg_segment_ptr 1
		.amdhsa_user_sgpr_dispatch_id 0
		.amdhsa_user_sgpr_flat_scratch_init 0
		.amdhsa_user_sgpr_private_segment_size 0
		.amdhsa_wavefront_size32 1
		.amdhsa_uses_dynamic_stack 0
		.amdhsa_system_sgpr_private_segment_wavefront_offset 0
		.amdhsa_system_sgpr_workgroup_id_x 1
		.amdhsa_system_sgpr_workgroup_id_y 0
		.amdhsa_system_sgpr_workgroup_id_z 0
		.amdhsa_system_sgpr_workgroup_info 0
		.amdhsa_system_vgpr_workitem_id 0
		.amdhsa_next_free_vgpr 59
		.amdhsa_next_free_sgpr 44
		.amdhsa_reserve_vcc 1
		.amdhsa_reserve_flat_scratch 0
		.amdhsa_float_round_mode_32 0
		.amdhsa_float_round_mode_16_64 0
		.amdhsa_float_denorm_mode_32 3
		.amdhsa_float_denorm_mode_16_64 3
		.amdhsa_dx10_clamp 1
		.amdhsa_ieee_mode 1
		.amdhsa_fp16_overflow 0
		.amdhsa_workgroup_processor_mode 1
		.amdhsa_memory_ordered 1
		.amdhsa_forward_progress 0
		.amdhsa_shared_vgpr_count 0
		.amdhsa_exception_fp_ieee_invalid_op 0
		.amdhsa_exception_fp_denorm_src 0
		.amdhsa_exception_fp_ieee_div_zero 0
		.amdhsa_exception_fp_ieee_overflow 0
		.amdhsa_exception_fp_ieee_underflow 0
		.amdhsa_exception_fp_ieee_inexact 0
		.amdhsa_exception_int_div_zero 0
	.end_amdhsa_kernel
	.text
.Lfunc_end0:
	.size	fft_rtc_back_len1331_factors_11_11_11_wgs_121_tpt_121_half_op_CI_CI_sbrc_unaligned_dirReg, .Lfunc_end0-fft_rtc_back_len1331_factors_11_11_11_wgs_121_tpt_121_half_op_CI_CI_sbrc_unaligned_dirReg
                                        ; -- End function
	.section	.AMDGPU.csdata,"",@progbits
; Kernel info:
; codeLenInByte = 10592
; NumSgprs: 46
; NumVgprs: 59
; ScratchSize: 0
; MemoryBound: 0
; FloatMode: 240
; IeeeMode: 1
; LDSByteSize: 0 bytes/workgroup (compile time only)
; SGPRBlocks: 5
; VGPRBlocks: 7
; NumSGPRsForWavesPerEU: 46
; NumVGPRsForWavesPerEU: 59
; Occupancy: 16
; WaveLimiterHint : 1
; COMPUTE_PGM_RSRC2:SCRATCH_EN: 0
; COMPUTE_PGM_RSRC2:USER_SGPR: 6
; COMPUTE_PGM_RSRC2:TRAP_HANDLER: 0
; COMPUTE_PGM_RSRC2:TGID_X_EN: 1
; COMPUTE_PGM_RSRC2:TGID_Y_EN: 0
; COMPUTE_PGM_RSRC2:TGID_Z_EN: 0
; COMPUTE_PGM_RSRC2:TIDIG_COMP_CNT: 0
	.text
	.p2alignl 6, 3214868480
	.fill 48, 4, 3214868480
	.type	__hip_cuid_ca37cf0c2a5c785,@object ; @__hip_cuid_ca37cf0c2a5c785
	.section	.bss,"aw",@nobits
	.globl	__hip_cuid_ca37cf0c2a5c785
__hip_cuid_ca37cf0c2a5c785:
	.byte	0                               ; 0x0
	.size	__hip_cuid_ca37cf0c2a5c785, 1

	.ident	"AMD clang version 19.0.0git (https://github.com/RadeonOpenCompute/llvm-project roc-6.4.0 25133 c7fe45cf4b819c5991fe208aaa96edf142730f1d)"
	.section	".note.GNU-stack","",@progbits
	.addrsig
	.addrsig_sym __hip_cuid_ca37cf0c2a5c785
	.amdgpu_metadata
---
amdhsa.kernels:
  - .args:
      - .actual_access:  read_only
        .address_space:  global
        .offset:         0
        .size:           8
        .value_kind:     global_buffer
      - .offset:         8
        .size:           8
        .value_kind:     by_value
      - .actual_access:  read_only
        .address_space:  global
        .offset:         16
        .size:           8
        .value_kind:     global_buffer
      - .actual_access:  read_only
        .address_space:  global
        .offset:         24
        .size:           8
        .value_kind:     global_buffer
      - .actual_access:  read_only
        .address_space:  global
        .offset:         32
        .size:           8
        .value_kind:     global_buffer
      - .offset:         40
        .size:           8
        .value_kind:     by_value
      - .actual_access:  read_only
        .address_space:  global
        .offset:         48
        .size:           8
        .value_kind:     global_buffer
      - .actual_access:  read_only
        .address_space:  global
        .offset:         56
        .size:           8
        .value_kind:     global_buffer
      - .offset:         64
        .size:           4
        .value_kind:     by_value
      - .actual_access:  read_only
        .address_space:  global
        .offset:         72
        .size:           8
        .value_kind:     global_buffer
      - .actual_access:  read_only
        .address_space:  global
        .offset:         80
        .size:           8
        .value_kind:     global_buffer
      - .actual_access:  read_only
        .address_space:  global
        .offset:         88
        .size:           8
        .value_kind:     global_buffer
      - .actual_access:  write_only
        .address_space:  global
        .offset:         96
        .size:           8
        .value_kind:     global_buffer
    .group_segment_fixed_size: 0
    .kernarg_segment_align: 8
    .kernarg_segment_size: 104
    .language:       OpenCL C
    .language_version:
      - 2
      - 0
    .max_flat_workgroup_size: 121
    .name:           fft_rtc_back_len1331_factors_11_11_11_wgs_121_tpt_121_half_op_CI_CI_sbrc_unaligned_dirReg
    .private_segment_fixed_size: 0
    .sgpr_count:     46
    .sgpr_spill_count: 0
    .symbol:         fft_rtc_back_len1331_factors_11_11_11_wgs_121_tpt_121_half_op_CI_CI_sbrc_unaligned_dirReg.kd
    .uniform_work_group_size: 1
    .uses_dynamic_stack: false
    .vgpr_count:     59
    .vgpr_spill_count: 0
    .wavefront_size: 32
    .workgroup_processor_mode: 1
amdhsa.target:   amdgcn-amd-amdhsa--gfx1030
amdhsa.version:
  - 1
  - 2
...

	.end_amdgpu_metadata
